;; amdgpu-corpus repo=ggml-org/llama.cpp kind=compiled arch=gfx950 opt=O3
	.amdgcn_target "amdgcn-amd-amdhsa--gfx950"
	.amdhsa_code_object_version 6
	.section	.text._Z18ssm_scan_f32_groupILi4ELi128EEvPKfS1_S1_S1_S1_S1_PKiPfiiiiiiiiiiilllll,"axG",@progbits,_Z18ssm_scan_f32_groupILi4ELi128EEvPKfS1_S1_S1_S1_S1_PKiPfiiiiiiiiiiilllll,comdat
	.protected	_Z18ssm_scan_f32_groupILi4ELi128EEvPKfS1_S1_S1_S1_S1_PKiPfiiiiiiiiiiilllll ; -- Begin function _Z18ssm_scan_f32_groupILi4ELi128EEvPKfS1_S1_S1_S1_S1_PKiPfiiiiiiiiiiilllll
	.globl	_Z18ssm_scan_f32_groupILi4ELi128EEvPKfS1_S1_S1_S1_S1_PKiPfiiiiiiiiiiilllll
	.p2align	8
	.type	_Z18ssm_scan_f32_groupILi4ELi128EEvPKfS1_S1_S1_S1_S1_PKiPfiiiiiiiiiiilllll,@function
_Z18ssm_scan_f32_groupILi4ELi128EEvPKfS1_S1_S1_S1_S1_PKiPfiiiiiiiiiiilllll: ; @_Z18ssm_scan_f32_groupILi4ELi128EEvPKfS1_S1_S1_S1_S1_PKiPfiiiiiiiiiiilllll
; %bb.0:
	s_load_dwordx8 s[20:27], s[0:1], 0x70
	s_load_dwordx2 s[44:45], s[0:1], 0x90
	v_lshrrev_b32_e32 v1, 5, v0
	v_lshl_or_b32 v10, s2, 2, v1
	v_ashrrev_i32_e32 v11, 31, v10
	s_waitcnt lgkmcnt(0)
	v_or_b32_e32 v3, s25, v11
	v_mov_b32_e32 v2, 0
	s_mov_b32 s34, s3
	v_cmp_ne_u64_e32 vcc, 0, v[2:3]
                                        ; implicit-def: $vgpr12_vgpr13
	s_and_saveexec_b64 s[2:3], vcc
	s_xor_b64 s[4:5], exec, s[2:3]
	s_cbranch_execz .LBB0_2
; %bb.1:
	s_ashr_i32 s6, s25, 31
	s_add_u32 s2, s24, s6
	s_mov_b32 s7, s6
	s_addc_u32 s3, s25, s6
	s_xor_b64 s[8:9], s[2:3], s[6:7]
	v_cvt_f32_u32_e32 v1, s8
	v_cvt_f32_u32_e32 v3, s9
	s_sub_u32 s7, 0, s8
	s_subb_u32 s10, 0, s9
	v_ashrrev_i32_e32 v4, 31, v11
	v_fmamk_f32 v1, v3, 0x4f800000, v1
	v_rcp_f32_e32 v1, v1
	v_mov_b32_e32 v5, v4
	v_lshl_add_u64 v[6:7], v[10:11], 0, v[4:5]
	v_xor_b32_e32 v5, v6, v4
	v_mul_f32_e32 v1, 0x5f7ffffc, v1
	v_mul_f32_e32 v3, 0x2f800000, v1
	v_trunc_f32_e32 v3, v3
	v_fmamk_f32 v1, v3, 0xcf800000, v1
	v_cvt_u32_f32_e32 v3, v3
	v_cvt_u32_f32_e32 v1, v1
	v_mov_b32_e32 v9, v2
	v_readfirstlane_b32 s11, v3
	v_readfirstlane_b32 s2, v1
	s_mul_i32 s3, s7, s11
	s_mul_hi_u32 s13, s7, s2
	s_mul_i32 s12, s10, s2
	s_add_i32 s3, s13, s3
	s_add_i32 s3, s3, s12
	s_mul_i32 s14, s7, s2
	s_mul_i32 s13, s2, s3
	s_mul_hi_u32 s15, s2, s14
	s_mul_hi_u32 s12, s2, s3
	s_add_u32 s13, s15, s13
	s_addc_u32 s12, 0, s12
	s_mul_hi_u32 s16, s11, s14
	s_mul_i32 s14, s11, s14
	s_add_u32 s13, s13, s14
	s_mul_hi_u32 s15, s11, s3
	s_addc_u32 s12, s12, s16
	s_addc_u32 s13, s15, 0
	s_mul_i32 s3, s11, s3
	s_add_u32 s3, s12, s3
	s_addc_u32 s12, 0, s13
	s_add_u32 s13, s2, s3
	s_cselect_b64 s[2:3], -1, 0
	s_cmp_lg_u64 s[2:3], 0
	s_addc_u32 s11, s11, s12
	s_mul_i32 s2, s7, s11
	s_mul_hi_u32 s3, s7, s13
	s_add_i32 s2, s3, s2
	s_mul_i32 s10, s10, s13
	s_add_i32 s2, s2, s10
	s_mul_i32 s7, s7, s13
	s_mul_hi_u32 s10, s11, s7
	s_mul_i32 s12, s11, s7
	s_mul_i32 s15, s13, s2
	s_mul_hi_u32 s7, s13, s7
	s_mul_hi_u32 s14, s13, s2
	s_add_u32 s7, s7, s15
	s_addc_u32 s14, 0, s14
	s_add_u32 s7, s7, s12
	s_mul_hi_u32 s3, s11, s2
	s_addc_u32 s7, s14, s10
	s_addc_u32 s3, s3, 0
	s_mul_i32 s2, s11, s2
	s_add_u32 s2, s7, s2
	s_addc_u32 s7, 0, s3
	s_add_u32 s10, s13, s2
	s_cselect_b64 s[2:3], -1, 0
	s_cmp_lg_u64 s[2:3], 0
	s_addc_u32 s7, s11, s7
	v_xor_b32_e32 v1, v7, v4
	v_mad_u64_u32 v[6:7], s[2:3], v5, s7, 0
	v_mul_hi_u32 v8, v5, s10
	v_lshl_add_u64 v[6:7], v[8:9], 0, v[6:7]
	v_mad_u64_u32 v[12:13], s[2:3], v1, s10, 0
	v_add_co_u32_e32 v3, vcc, v6, v12
	v_mad_u64_u32 v[8:9], s[2:3], v1, s7, 0
	s_nop 0
	v_addc_co_u32_e32 v6, vcc, v7, v13, vcc
	v_mov_b32_e32 v7, v2
	s_nop 0
	v_addc_co_u32_e32 v9, vcc, 0, v9, vcc
	v_lshl_add_u64 v[2:3], v[6:7], 0, v[8:9]
	v_mul_lo_u32 v8, s9, v2
	v_mul_lo_u32 v9, s8, v3
	v_mad_u64_u32 v[6:7], s[2:3], s8, v2, 0
	v_add3_u32 v12, v7, v9, v8
	v_sub_u32_e32 v7, v1, v12
	v_mov_b32_e32 v8, s9
	v_sub_co_u32_e32 v5, vcc, v5, v6
	s_nop 1
	v_subb_co_u32_e64 v6, s[2:3], v7, v8, vcc
	v_subrev_co_u32_e64 v7, s[2:3], s8, v5
	v_subb_co_u32_e32 v1, vcc, v1, v12, vcc
	s_nop 0
	v_subbrev_co_u32_e64 v6, s[2:3], 0, v6, s[2:3]
	v_cmp_le_u32_e64 s[2:3], s9, v6
	v_cmp_le_u32_e32 vcc, s9, v1
	s_nop 0
	v_cndmask_b32_e64 v8, 0, -1, s[2:3]
	v_cmp_le_u32_e64 s[2:3], s8, v7
	s_nop 1
	v_cndmask_b32_e64 v7, 0, -1, s[2:3]
	v_cmp_eq_u32_e64 s[2:3], s9, v6
	s_nop 1
	v_cndmask_b32_e64 v13, v8, v7, s[2:3]
	v_lshl_add_u64 v[6:7], v[2:3], 0, 2
	v_lshl_add_u64 v[8:9], v[2:3], 0, 1
	v_cndmask_b32_e64 v3, 0, -1, vcc
	v_cmp_le_u32_e32 vcc, s8, v5
	s_nop 1
	v_cndmask_b32_e64 v5, 0, -1, vcc
	v_cmp_eq_u32_e32 vcc, s9, v1
	s_nop 1
	v_cndmask_b32_e32 v1, v3, v5, vcc
	v_cmp_ne_u32_e32 vcc, 0, v13
	s_nop 1
	v_cndmask_b32_e32 v3, v8, v6, vcc
	v_cmp_ne_u32_e32 vcc, 0, v1
	s_nop 1
	v_cndmask_b32_e32 v1, v2, v3, vcc
	v_xor_b32_e32 v2, s6, v4
	v_xor_b32_e32 v1, v1, v2
	v_sub_co_u32_e32 v12, vcc, v1, v2
.LBB0_2:
	s_andn2_saveexec_b64 s[2:3], s[4:5]
	s_cbranch_execz .LBB0_4
; %bb.3:
	v_cvt_f32_u32_e32 v1, s24
	s_sub_i32 s4, 0, s24
	v_rcp_iflag_f32_e32 v1, v1
	s_nop 0
	v_mul_f32_e32 v1, 0x4f7ffffe, v1
	v_cvt_u32_f32_e32 v1, v1
	v_mul_lo_u32 v2, s4, v1
	v_mul_hi_u32 v2, v1, v2
	v_add_u32_e32 v1, v1, v2
	v_mul_hi_u32 v1, v10, v1
	v_mul_lo_u32 v2, v1, s24
	v_sub_u32_e32 v2, v10, v2
	v_add_u32_e32 v3, 1, v1
	v_subrev_u32_e32 v4, s24, v2
	v_cmp_le_u32_e32 vcc, s24, v2
	s_nop 1
	v_cndmask_b32_e32 v2, v2, v4, vcc
	v_cndmask_b32_e32 v1, v1, v3, vcc
	v_add_u32_e32 v3, 1, v1
	v_cmp_le_u32_e32 vcc, s24, v2
	s_nop 1
	v_cndmask_b32_e32 v12, v1, v3, vcc
.LBB0_4:
	s_or_b64 exec, exec, s[2:3]
	s_load_dwordx16 s[4:19], s[0:1], 0x0
	s_load_dwordx8 s[36:43], s[0:1], 0x40
	s_ashr_i32 s35, s34, 31
	s_lshl_b64 s[2:3], s[34:35], 2
	v_and_b32_e32 v20, 31, v0
	s_waitcnt lgkmcnt(0)
	s_add_u32 s2, s16, s2
	s_addc_u32 s3, s17, s3
	s_load_dword s2, s[2:3], 0x0
	v_mul_lo_u32 v0, v12, s24
	v_sub_u32_e32 v2, v10, v0
	v_mul_lo_u32 v0, s36, v12
	v_ashrrev_i32_e32 v1, 31, v0
	s_waitcnt lgkmcnt(0)
	s_mul_i32 s2, s2, s37
	s_ashr_i32 s3, s2, 31
	s_add_u32 s2, s4, s2
	s_addc_u32 s3, s5, s3
	v_lshlrev_b32_e32 v2, 9, v2
	v_lshl_add_u64 v[4:5], s[2:3], 0, v[0:1]
	v_ashrrev_i32_e32 v3, 31, v2
	v_lshl_add_u64 v[6:7], v[4:5], 0, v[2:3]
	v_mov_b32_e32 v5, 0
	v_lshlrev_b32_e32 v4, 2, v20
	v_lshl_add_u64 v[14:15], v[6:7], 0, v[4:5]
	global_load_dword v8, v[14:15], off
	global_load_dword v9, v[14:15], off offset:128
	global_load_dword v6, v[14:15], off offset:256
	;; [unrolled: 1-line block ×3, first 2 shown]
	v_cmp_lt_i64_e64 s[2:3], s[44:45], 1
	s_and_b64 vcc, exec, s[2:3]
	s_cbranch_vccnz .LBB0_18
; %bb.5:
	s_or_b64 s[2:3], s[22:23], s[26:27]
	s_mov_b32 s2, 0
	s_cmp_lg_u64 s[2:3], 0
	s_cbranch_scc0 .LBB0_19
; %bb.6:
	s_ashr_i32 s2, s27, 31
	s_add_u32 s4, s26, s2
	s_mov_b32 s3, s2
	s_addc_u32 s5, s27, s2
	s_xor_b64 s[16:17], s[4:5], s[2:3]
	v_cvt_f32_u32_e32 v5, s16
	v_cvt_f32_u32_e32 v13, s17
	s_sub_u32 s27, 0, s16
	s_subb_u32 s30, 0, s17
	v_fmamk_f32 v5, v13, 0x4f800000, v5
	v_rcp_f32_e32 v5, v5
	s_nop 0
	v_mul_f32_e32 v5, 0x5f7ffffc, v5
	v_mul_f32_e32 v13, 0x2f800000, v5
	v_trunc_f32_e32 v13, v13
	v_fmamk_f32 v5, v13, 0xcf800000, v5
	v_cvt_u32_f32_e32 v13, v13
	v_cvt_u32_f32_e32 v5, v5
	v_readfirstlane_b32 s31, v13
	v_readfirstlane_b32 s28, v5
	s_mul_i32 s29, s27, s31
	s_mul_hi_u32 s36, s27, s28
	s_mul_i32 s33, s30, s28
	s_add_i32 s29, s36, s29
	s_add_i32 s29, s29, s33
	s_mul_i32 s46, s27, s28
	s_mul_i32 s36, s28, s29
	s_mul_hi_u32 s47, s28, s46
	s_mul_hi_u32 s33, s28, s29
	s_add_u32 s36, s47, s36
	s_addc_u32 s33, 0, s33
	s_mul_hi_u32 s48, s31, s46
	s_mul_i32 s46, s31, s46
	s_add_u32 s36, s36, s46
	s_mul_hi_u32 s47, s31, s29
	s_addc_u32 s33, s33, s48
	s_addc_u32 s36, s47, 0
	s_mul_i32 s29, s31, s29
	s_add_u32 s29, s33, s29
	s_addc_u32 s33, 0, s36
	s_add_u32 s36, s28, s29
	s_cselect_b64 s[28:29], -1, 0
	s_cmp_lg_u64 s[28:29], 0
	s_addc_u32 s31, s31, s33
	s_mul_i32 s28, s27, s31
	s_mul_hi_u32 s29, s27, s36
	s_add_i32 s28, s29, s28
	s_mul_i32 s30, s30, s36
	s_add_i32 s28, s28, s30
	s_mul_i32 s27, s27, s36
	s_mul_hi_u32 s30, s31, s27
	s_mul_i32 s33, s31, s27
	s_mul_i32 s47, s36, s28
	s_mul_hi_u32 s27, s36, s27
	s_mul_hi_u32 s46, s36, s28
	s_add_u32 s27, s27, s47
	s_addc_u32 s46, 0, s46
	s_add_u32 s27, s27, s33
	s_mul_hi_u32 s29, s31, s28
	s_addc_u32 s27, s46, s30
	s_addc_u32 s29, s29, 0
	s_mul_i32 s28, s31, s28
	s_add_u32 s27, s27, s28
	s_addc_u32 s30, 0, s29
	s_add_u32 s27, s36, s27
	s_cselect_b64 s[28:29], -1, 0
	s_cmp_lg_u64 s[28:29], 0
	s_addc_u32 s33, s31, s30
	s_ashr_i32 s28, s23, 31
	s_add_u32 s30, s22, s28
	s_mov_b32 s29, s28
	s_addc_u32 s31, s23, s28
	s_xor_b64 s[30:31], s[30:31], s[28:29]
	s_mul_i32 s46, s30, s33
	s_mul_hi_u32 s47, s30, s27
	s_mul_hi_u32 s36, s30, s33
	s_add_u32 s46, s47, s46
	s_addc_u32 s36, 0, s36
	s_mul_hi_u32 s48, s31, s27
	s_mul_i32 s27, s31, s27
	s_add_u32 s27, s46, s27
	s_mul_hi_u32 s47, s31, s33
	s_addc_u32 s27, s36, s48
	s_addc_u32 s36, s47, 0
	s_mul_i32 s33, s31, s33
	s_add_u32 s27, s27, s33
	s_addc_u32 s33, 0, s36
	s_mul_i32 s36, s16, s33
	s_mul_hi_u32 s46, s16, s27
	s_add_i32 s36, s46, s36
	s_mul_i32 s46, s17, s27
	s_add_i32 s36, s36, s46
	s_sub_i32 s48, s31, s36
	s_mul_i32 s46, s16, s27
	s_sub_u32 s30, s30, s46
	s_cselect_b64 s[46:47], -1, 0
	s_cmp_lg_u64 s[46:47], 0
	s_subb_u32 s50, s48, s17
	s_sub_u32 s51, s30, s16
	s_cselect_b64 s[48:49], -1, 0
	s_cmp_lg_u64 s[48:49], 0
	s_subb_u32 s48, s50, 0
	s_cmp_ge_u32 s48, s17
	s_cselect_b32 s49, -1, 0
	s_cmp_ge_u32 s51, s16
	s_cselect_b32 s50, -1, 0
	s_cmp_eq_u32 s48, s17
	s_cselect_b32 s48, s50, s49
	s_add_u32 s49, s27, 1
	s_addc_u32 s50, s33, 0
	s_add_u32 s51, s27, 2
	s_addc_u32 s52, s33, 0
	s_cmp_lg_u32 s48, 0
	s_cselect_b32 s48, s51, s49
	s_cselect_b32 s49, s52, s50
	s_cmp_lg_u64 s[46:47], 0
	s_subb_u32 s31, s31, s36
	s_cmp_ge_u32 s31, s17
	s_cselect_b32 s36, -1, 0
	s_cmp_ge_u32 s30, s16
	s_cselect_b32 s16, -1, 0
	s_cmp_eq_u32 s31, s17
	s_cselect_b32 s16, s16, s36
	s_cmp_lg_u32 s16, 0
	s_cselect_b32 s17, s49, s33
	s_cselect_b32 s16, s48, s27
	s_xor_b64 s[2:3], s[28:29], s[2:3]
	s_xor_b64 s[16:17], s[16:17], s[2:3]
	s_sub_u32 s2, s16, s2
	s_subb_u32 s3, s17, s3
	s_load_dwordx4 s[28:31], s[0:1], 0x60
	s_cbranch_execnz .LBB0_8
.LBB0_7:
	v_cvt_f32_u32_e32 v5, s26
	s_sub_i32 s0, 0, s26
	s_mov_b32 s3, 0
	v_rcp_iflag_f32_e32 v5, v5
	s_nop 0
	v_mul_f32_e32 v5, 0x4f7ffffe, v5
	v_cvt_u32_f32_e32 v5, v5
	s_nop 0
	v_readfirstlane_b32 s1, v5
	s_mul_i32 s0, s0, s1
	s_mul_hi_u32 s0, s1, s0
	s_add_i32 s1, s1, s0
	s_mul_hi_u32 s0, s22, s1
	s_mul_i32 s2, s0, s26
	s_sub_i32 s2, s22, s2
	s_add_i32 s1, s0, 1
	s_sub_i32 s4, s2, s26
	s_cmp_ge_u32 s2, s26
	s_cselect_b32 s0, s1, s0
	s_cselect_b32 s2, s4, s2
	s_add_i32 s1, s0, 1
	s_cmp_ge_u32 s2, s26
	s_cselect_b32 s2, s1, s0
.LBB0_8:
	v_ashrrev_i32_e32 v13, 31, v12
	v_mov_b32_e32 v14, 0
	v_or_b32_e32 v15, s3, v13
	v_cmp_ne_u64_e32 vcc, 0, v[14:15]
                                        ; implicit-def: $vgpr18_vgpr19
	s_and_saveexec_b64 s[0:1], vcc
	s_xor_b64 s[4:5], exec, s[0:1]
	s_cbranch_execz .LBB0_10
; %bb.9:
	s_ashr_i32 s16, s3, 31
	s_add_u32 s0, s2, s16
	s_mov_b32 s17, s16
	s_addc_u32 s1, s3, s16
	s_xor_b64 s[26:27], s[0:1], s[16:17]
	v_cvt_f32_u32_e32 v5, s26
	v_cvt_f32_u32_e32 v15, s27
	s_sub_u32 s3, 0, s26
	s_subb_u32 s17, 0, s27
	v_ashrrev_i32_e32 v16, 31, v13
	v_fmamk_f32 v5, v15, 0x4f800000, v5
	v_rcp_f32_e32 v5, v5
	v_mov_b32_e32 v17, v16
	v_lshl_add_u64 v[18:19], v[12:13], 0, v[16:17]
	v_xor_b32_e32 v13, v18, v16
	v_mul_f32_e32 v5, 0x5f7ffffc, v5
	v_mul_f32_e32 v15, 0x2f800000, v5
	v_trunc_f32_e32 v15, v15
	v_fmamk_f32 v5, v15, 0xcf800000, v5
	v_cvt_u32_f32_e32 v15, v15
	v_cvt_u32_f32_e32 v5, v5
	v_mov_b32_e32 v23, v14
	v_mov_b32_e32 v21, s27
	s_waitcnt lgkmcnt(0)
	v_readfirstlane_b32 s31, v15
	v_readfirstlane_b32 s0, v5
	s_mul_i32 s1, s3, s31
	s_mul_hi_u32 s36, s3, s0
	s_mul_i32 s33, s17, s0
	s_add_i32 s1, s36, s1
	s_add_i32 s1, s1, s33
	s_mul_i32 s46, s3, s0
	s_mul_i32 s36, s0, s1
	s_mul_hi_u32 s47, s0, s46
	s_mul_hi_u32 s33, s0, s1
	s_add_u32 s36, s47, s36
	s_addc_u32 s33, 0, s33
	s_mul_hi_u32 s48, s31, s46
	s_mul_i32 s46, s31, s46
	s_add_u32 s36, s36, s46
	s_mul_hi_u32 s47, s31, s1
	s_addc_u32 s33, s33, s48
	s_addc_u32 s36, s47, 0
	s_mul_i32 s1, s31, s1
	s_add_u32 s1, s33, s1
	s_addc_u32 s33, 0, s36
	s_add_u32 s36, s0, s1
	s_cselect_b64 s[0:1], -1, 0
	s_cmp_lg_u64 s[0:1], 0
	s_addc_u32 s31, s31, s33
	s_mul_i32 s0, s3, s31
	s_mul_hi_u32 s1, s3, s36
	s_add_i32 s0, s1, s0
	s_mul_i32 s17, s17, s36
	s_add_i32 s0, s0, s17
	s_mul_i32 s3, s3, s36
	s_mul_hi_u32 s17, s31, s3
	s_mul_i32 s33, s31, s3
	s_mul_i32 s47, s36, s0
	s_mul_hi_u32 s3, s36, s3
	s_mul_hi_u32 s46, s36, s0
	s_add_u32 s3, s3, s47
	s_addc_u32 s46, 0, s46
	s_add_u32 s3, s3, s33
	s_mul_hi_u32 s1, s31, s0
	s_addc_u32 s3, s46, s17
	s_addc_u32 s1, s1, 0
	s_mul_i32 s0, s31, s0
	s_add_u32 s0, s3, s0
	s_addc_u32 s3, 0, s1
	s_add_u32 s17, s36, s0
	s_cselect_b64 s[0:1], -1, 0
	s_cmp_lg_u64 s[0:1], 0
	s_addc_u32 s3, s31, s3
	v_xor_b32_e32 v5, v19, v16
	v_mad_u64_u32 v[18:19], s[0:1], v13, s3, 0
	v_mul_hi_u32 v22, v13, s17
	v_lshl_add_u64 v[18:19], v[22:23], 0, v[18:19]
	v_mad_u64_u32 v[24:25], s[0:1], v5, s17, 0
	v_add_co_u32_e32 v15, vcc, v18, v24
	v_mad_u64_u32 v[22:23], s[0:1], v5, s3, 0
	s_nop 0
	v_addc_co_u32_e32 v18, vcc, v19, v25, vcc
	v_mov_b32_e32 v19, v14
	s_nop 0
	v_addc_co_u32_e32 v23, vcc, 0, v23, vcc
	v_lshl_add_u64 v[18:19], v[18:19], 0, v[22:23]
	v_mul_lo_u32 v15, s27, v18
	v_mul_lo_u32 v17, s26, v19
	v_mad_u64_u32 v[22:23], s[0:1], s26, v18, 0
	v_add3_u32 v15, v23, v17, v15
	v_sub_u32_e32 v17, v5, v15
	v_sub_co_u32_e32 v13, vcc, v13, v22
	v_lshl_add_u64 v[24:25], v[18:19], 0, 1
	s_nop 0
	v_subb_co_u32_e64 v17, s[0:1], v17, v21, vcc
	v_subrev_co_u32_e64 v21, s[0:1], s26, v13
	v_subb_co_u32_e32 v5, vcc, v5, v15, vcc
	s_nop 0
	v_subbrev_co_u32_e64 v17, s[0:1], 0, v17, s[0:1]
	v_cmp_le_u32_e64 s[0:1], s27, v17
	v_cmp_le_u32_e32 vcc, s27, v5
	s_nop 0
	v_cndmask_b32_e64 v22, 0, -1, s[0:1]
	v_cmp_le_u32_e64 s[0:1], s26, v21
	v_cndmask_b32_e64 v15, 0, -1, vcc
	v_cmp_le_u32_e32 vcc, s26, v13
	v_cndmask_b32_e64 v21, 0, -1, s[0:1]
	v_cmp_eq_u32_e64 s[0:1], s27, v17
	v_cndmask_b32_e64 v13, 0, -1, vcc
	v_cmp_eq_u32_e32 vcc, s27, v5
	v_cndmask_b32_e64 v17, v22, v21, s[0:1]
	v_lshl_add_u64 v[22:23], v[18:19], 0, 2
	v_cndmask_b32_e32 v5, v15, v13, vcc
	v_cmp_ne_u32_e32 vcc, 0, v17
	s_nop 1
	v_cndmask_b32_e32 v13, v24, v22, vcc
	v_cmp_ne_u32_e32 vcc, 0, v5
	s_nop 1
	v_cndmask_b32_e32 v5, v18, v13, vcc
	v_xor_b32_e32 v13, s16, v16
	v_xor_b32_e32 v5, v5, v13
	v_sub_co_u32_e32 v18, vcc, v5, v13
.LBB0_10:
	s_or_saveexec_b64 s[0:1], s[4:5]
	v_mov_b32_e32 v15, v12
	s_xor_b64 exec, exec, s[0:1]
	s_cbranch_execz .LBB0_12
; %bb.11:
	v_cvt_f32_u32_e32 v5, s2
	s_sub_i32 s3, 0, s2
	v_rcp_iflag_f32_e32 v5, v5
	s_nop 0
	v_mul_f32_e32 v5, 0x4f7ffffe, v5
	v_cvt_u32_f32_e32 v5, v5
	v_mul_lo_u32 v13, s3, v5
	v_mul_hi_u32 v13, v5, v13
	v_add_u32_e32 v5, v5, v13
	v_mul_hi_u32 v5, v15, v5
	v_mul_lo_u32 v13, v5, s2
	v_sub_u32_e32 v13, v15, v13
	v_add_u32_e32 v16, 1, v5
	v_subrev_u32_e32 v17, s2, v13
	v_cmp_le_u32_e32 vcc, s2, v13
	s_nop 1
	v_cndmask_b32_e32 v13, v13, v17, vcc
	v_cndmask_b32_e32 v5, v5, v16, vcc
	v_add_u32_e32 v16, 1, v5
	v_cmp_le_u32_e32 vcc, s2, v13
	s_nop 1
	v_cndmask_b32_e32 v18, v5, v16, vcc
.LBB0_12:
	s_or_b64 exec, exec, s[0:1]
	s_mul_i32 s2, s24, s23
	s_mul_hi_u32 s4, s24, s22
	s_add_i32 s2, s4, s2
	s_mul_i32 s4, s25, s22
	s_add_i32 s4, s2, s4
	s_mul_i32 s2, s24, s22
	s_mul_i32 s5, s2, s35
	s_mul_hi_u32 s22, s2, s34
	s_add_i32 s5, s22, s5
	s_mul_i32 s4, s4, s34
	s_mul_i32 s22, s2, s34
	s_add_i32 s4, s5, s4
	s_mul_i32 s5, s22, s45
	s_mul_hi_u32 s23, s22, s44
	s_mul_i32 s4, s4, s44
	s_add_i32 s5, s23, s5
	s_waitcnt lgkmcnt(0)
	s_mul_i32 s26, s30, s34
	s_mul_i32 s1, s39, s34
	;; [unrolled: 1-line block ×3, first 2 shown]
	s_add_i32 s5, s5, s4
	s_mul_i32 s4, s22, s44
	s_ashr_i32 s0, s43, 2
	s_ashr_i32 s16, s38, 2
	;; [unrolled: 1-line block ×5, first 2 shown]
	s_lshl_b64 s[4:5], s[4:5], 2
	s_add_u32 s4, s18, s4
	s_addc_u32 s5, s19, s5
	s_add_u32 s6, s6, s1
	v_lshlrev_b64 v[16:17], 2, v[10:11]
	s_addc_u32 s7, s7, s3
	v_mbcnt_lo_u32_b32 v5, -1, 0
	v_mul_lo_u32 v22, s42, v12
	v_lshl_add_u64 v[10:11], s[6:7], 0, v[16:17]
	s_add_u32 s6, s8, s17
	v_mbcnt_hi_u32_b32 v5, -1, v5
	v_ashrrev_i64 v[14:15], 30, v[14:15]
	v_ashrrev_i32_e32 v23, 31, v22
	s_addc_u32 s7, s9, s30
	v_and_b32_e32 v21, 0x60, v5
	v_lshl_add_u64 v[12:13], s[6:7], 0, v[14:15]
	v_lshl_add_u64 v[14:15], s[10:11], 0, v[22:23]
	v_add_u32_e32 v21, 32, v21
	v_xor_b32_e32 v22, 16, v5
	v_cmp_lt_i32_e32 vcc, v22, v21
	v_lshl_add_u64 v[16:17], s[4:5], 0, v[16:17]
	s_ashr_i32 s4, s40, 2
	v_cndmask_b32_e32 v22, v5, v22, vcc
	v_lshlrev_b32_e32 v26, 2, v22
	v_xor_b32_e32 v22, 8, v5
	v_cmp_lt_i32_e32 vcc, v22, v21
	s_mul_i32 s8, s28, s34
	s_ashr_i32 s10, s29, 2
	v_cndmask_b32_e32 v22, v5, v22, vcc
	v_lshlrev_b32_e32 v27, 2, v22
	v_xor_b32_e32 v22, 4, v5
	v_cmp_lt_i32_e32 vcc, v22, v21
	s_ashr_i32 s5, s4, 31
	s_ashr_i32 s17, s16, 31
	v_cndmask_b32_e32 v22, v5, v22, vcc
	v_lshlrev_b32_e32 v28, 2, v22
	v_xor_b32_e32 v22, 2, v5
	v_cmp_lt_i32_e32 vcc, v22, v21
	s_bfe_i64 s[2:3], s[2:3], 0x200000
	s_ashr_i32 s9, s8, 31
	v_cndmask_b32_e32 v22, v5, v22, vcc
	v_lshlrev_b32_e32 v29, 2, v22
	v_xor_b32_e32 v22, 1, v5
	s_ashr_i32 s1, s0, 31
	s_ashr_i32 s11, s10, 31
	v_cmp_lt_i32_e32 vcc, v22, v21
	s_lshl_b64 s[2:3], s[2:3], 2
	s_lshl_b64 s[4:5], s[4:5], 2
	;; [unrolled: 1-line block ×3, first 2 shown]
	v_cndmask_b32_e32 v5, v5, v22, vcc
	s_add_u32 s8, s12, s8
	v_lshlrev_b32_e32 v30, 2, v5
	v_mov_b32_e32 v5, 0
	s_addc_u32 s9, s13, s9
	v_cmp_eq_u32_e32 vcc, 0, v20
	v_lshl_add_u64 v[20:21], s[8:9], 0, v[4:5]
	s_lshl_b64 s[8:9], s[0:1], 2
	s_add_u32 s0, s14, s26
	v_lshlrev_b32_e32 v18, 9, v18
	s_addc_u32 s1, s15, s27
                                        ; implicit-def: $vgpr24
	v_ashrrev_i32_e32 v19, 31, v18
	v_lshl_add_u64 v[22:23], s[0:1], 0, v[4:5]
	s_lshl_b64 s[10:11], s[10:11], 2
	s_mov_b32 s14, 0x41a00000
	s_mov_b32 s15, 0x3fb8aa3b
	;; [unrolled: 1-line block ×6, first 2 shown]
	v_mov_b32_e32 v5, 0x3ecc95a3
	s_mov_b32 s24, 0x3f317218
	s_mov_b32 s25, 0x33800000
	v_mov_b32_e32 v31, 0x7f800000
	v_mov_b32_e32 v24, 0x3f317218
	s_branch .LBB0_14
.LBB0_13:                               ;   in Loop: Header=BB0_14 Depth=1
	s_or_b64 exec, exec, s[0:1]
	s_add_u32 s44, s44, -1
	s_addc_u32 s45, s45, -1
	v_lshl_add_u64 v[16:17], v[16:17], 0, s[2:3]
	v_lshl_add_u64 v[12:13], v[12:13], 0, s[4:5]
	;; [unrolled: 1-line block ×4, first 2 shown]
	s_cmp_eq_u64 s[44:45], 0
	v_lshl_add_u64 v[22:23], v[22:23], 0, s[10:11]
	s_cbranch_scc1 .LBB0_18
.LBB0_14:                               ; =>This Inner Loop Header: Depth=1
	global_load_dword v25, v[12:13], off
	s_waitcnt vmcnt(0)
	v_cmp_ge_f32_e64 s[0:1], s14, v25
	s_and_saveexec_b64 s[12:13], s[0:1]
	s_cbranch_execz .LBB0_16
; %bb.15:                               ;   in Loop: Header=BB0_14 Depth=1
	s_waitcnt lgkmcnt(0)
	v_mul_f32_e32 v32, 0x3fb8aa3b, v25
	v_rndne_f32_e32 v33, v32
	v_sub_f32_e32 v34, v32, v33
	v_fma_f32 v32, v25, s15, -v32
	v_fmac_f32_e32 v32, 0x32a5705f, v25
	v_add_f32_e32 v32, v34, v32
	v_cvt_i32_f32_e32 v33, v33
	v_exp_f32_e32 v32, v32
	v_cmp_ngt_f32_e64 s[0:1], s16, v25
	v_ldexp_f32 v32, v32, v33
	s_nop 0
	v_cndmask_b32_e64 v32, 0, v32, s[0:1]
	v_cmp_nlt_f32_e64 s[0:1], s17, v25
	s_nop 1
	v_cndmask_b32_e64 v46, v31, v32, s[0:1]
	v_add_f32_e32 v25, 1.0, v46
	v_add_f32_e32 v32, -1.0, v25
	v_sub_f32_e32 v33, v32, v25
	v_add_f32_e32 v33, 1.0, v33
	v_sub_f32_e32 v32, v46, v32
	v_add_f32_e32 v34, v32, v33
	v_frexp_mant_f32_e32 v35, v25
	v_cvt_f64_f32_e32 v[32:33], v25
	v_frexp_exp_i32_f64_e32 v32, v[32:33]
	v_cmp_gt_f32_e64 s[0:1], s23, v35
	s_nop 1
	v_subbrev_co_u32_e64 v40, s[0:1], 0, v32, s[0:1]
	v_sub_u32_e32 v32, 0, v40
	v_ldexp_f32 v25, v25, v32
	v_ldexp_f32 v32, v34, v32
	v_add_f32_e32 v34, -1.0, v25
	v_add_f32_e32 v33, 1.0, v34
	v_sub_f32_e32 v33, v25, v33
	v_add_f32_e32 v35, v32, v33
	v_add_f32_e32 v33, 1.0, v25
	v_add_f32_e32 v36, -1.0, v33
	v_sub_f32_e32 v25, v25, v36
	v_add_f32_e32 v25, v32, v25
	v_add_f32_e32 v41, v33, v25
	v_rcp_f32_e32 v42, v41
	v_sub_f32_e32 v32, v33, v41
	v_add_f32_e32 v33, v34, v35
	v_add_f32_e32 v25, v25, v32
	v_mul_f32_e32 v44, v33, v42
	v_sub_f32_e32 v32, v34, v33
	v_mul_f32_e32 v34, v41, v44
	v_fma_f32 v36, v44, v41, -v34
	v_fmac_f32_e32 v36, v44, v25
	v_add_f32_e32 v43, v35, v32
	v_add_f32_e32 v32, v34, v36
	v_sub_f32_e32 v35, v33, v32
	v_pk_add_f32 v[38:39], v[32:33], v[34:35] neg_lo:[0,1] neg_hi:[0,1]
	v_mov_b32_e32 v37, v32
	v_pk_add_f32 v[32:33], v[38:39], v[36:37] neg_lo:[0,1] neg_hi:[0,1]
	v_cmp_neq_f32_e64 s[0:1], s22, v46
	v_add_f32_e32 v33, v43, v33
	v_add_f32_e32 v32, v32, v33
	v_add_f32_e32 v33, v35, v32
	v_mul_f32_e32 v43, v42, v33
	v_mul_f32_e32 v34, v41, v43
	v_fma_f32 v36, v43, v41, -v34
	v_fmac_f32_e32 v36, v43, v25
	v_sub_f32_e32 v25, v35, v33
	v_add_f32_e32 v25, v32, v25
	v_add_f32_e32 v32, v34, v36
	v_sub_f32_e32 v35, v33, v32
	v_pk_add_f32 v[38:39], v[32:33], v[34:35] neg_lo:[0,1] neg_hi:[0,1]
	v_mov_b32_e32 v37, v32
	v_pk_add_f32 v[32:33], v[38:39], v[36:37] neg_lo:[0,1] neg_hi:[0,1]
	s_nop 0
	v_add_f32_e32 v25, v25, v33
	v_add_f32_e32 v25, v32, v25
	;; [unrolled: 1-line block ×4, first 2 shown]
	v_sub_f32_e32 v32, v33, v44
	v_mul_f32_e32 v25, v42, v25
	v_sub_f32_e32 v32, v43, v32
	v_add_f32_e32 v34, v32, v25
	v_add_f32_e32 v36, v33, v34
	v_cvt_f32_i32_e32 v32, v40
	v_mul_f32_e32 v37, v36, v36
	v_sub_f32_e32 v33, v36, v33
	v_fmamk_f32 v25, v37, 0x3e9b6dac, v5
	v_sub_f32_e32 v33, v34, v33
	v_fmaak_f32 v25, v37, v25, 0x3f2aaada
	v_ldexp_f32 v38, v33, 1
	v_mul_f32_e32 v33, v36, v37
	v_ldexp_f32 v35, v36, 1
	v_pk_mul_f32 v[36:37], v[32:33], v[24:25]
	s_nop 0
	v_fma_f32 v34, v32, s24, -v36
	v_fmac_f32_e32 v34, 0xb102e308, v32
	v_pk_add_f32 v[32:33], v[36:37], v[34:35]
	s_nop 0
	v_sub_f32_e32 v25, v33, v35
	v_sub_f32_e32 v25, v37, v25
	v_add_f32_e32 v39, v38, v25
	v_mov_b32_e32 v38, v36
	v_pk_add_f32 v[36:37], v[32:33], v[36:37] neg_lo:[0,1] neg_hi:[0,1]
	v_pk_add_f32 v[40:41], v[32:33], v[38:39]
	v_mov_b32_e32 v35, v32
	v_mov_b32_e32 v37, v41
	v_pk_add_f32 v[42:43], v[34:35], v[36:37] neg_lo:[0,1] neg_hi:[0,1]
	v_pk_add_f32 v[34:35], v[34:35], v[36:37]
	v_mov_b32_e32 v38, v39
	v_pk_add_f32 v[36:37], v[34:35], v[32:33] op_sel:[1,0] op_sel_hi:[0,1] neg_lo:[0,1] neg_hi:[0,1]
	v_pk_add_f32 v[44:45], v[40:41], v[36:37] op_sel_hi:[1,0] neg_lo:[0,1] neg_hi:[0,1]
	v_mov_b32_e32 v40, v41
	v_mov_b32_e32 v41, v35
	v_pk_mov_b32 v[36:37], v[32:33], v[36:37] op_sel:[1,0]
	v_mov_b32_e32 v39, v32
	v_pk_add_f32 v[36:37], v[40:41], v[36:37] neg_lo:[0,1] neg_hi:[0,1]
	v_mov_b32_e32 v44, v42
	v_pk_add_f32 v[32:33], v[38:39], v[36:37] neg_lo:[0,1] neg_hi:[0,1]
	v_mov_b32_e32 v43, v35
	v_pk_add_f32 v[36:37], v[44:45], v[32:33]
	s_nop 0
	v_pk_add_f32 v[38:39], v[36:37], v[36:37] op_sel:[0,1] op_sel_hi:[1,0]
	s_nop 0
	v_pk_add_f32 v[34:35], v[34:35], v[38:39] op_sel:[1,0] op_sel_hi:[0,1]
	v_mov_b32_e32 v37, v34
	v_pk_add_f32 v[40:41], v[36:37], v[42:43] neg_lo:[0,1] neg_hi:[0,1]
	v_mov_b32_e32 v33, v38
	v_sub_f32_e32 v25, v36, v40
	v_pk_add_f32 v[32:33], v[32:33], v[40:41] neg_lo:[0,1] neg_hi:[0,1]
	v_sub_f32_e32 v25, v42, v25
	v_add_f32_e32 v25, v32, v25
	v_add_f32_e32 v25, v25, v33
	;; [unrolled: 1-line block ×3, first 2 shown]
	v_cndmask_b32_e64 v25, v31, v25, s[0:1]
	v_cmp_gt_f32_e64 s[0:1], s25, v46
	s_nop 1
	v_cndmask_b32_e64 v25, v25, v46, s[0:1]
.LBB0_16:                               ;   in Loop: Header=BB0_14 Depth=1
	s_or_b64 exec, exec, s[12:13]
	global_load_dword v38, v[14:15], off
	global_load_dword v39, v[10:11], off
	s_waitcnt lgkmcnt(0)
	v_lshl_add_u64 v[32:33], v[20:21], 0, v[18:19]
	global_load_dword v34, v[32:33], off
	global_load_dword v35, v[32:33], off offset:128
	global_load_dword v36, v[32:33], off offset:256
	;; [unrolled: 1-line block ×3, first 2 shown]
	v_lshl_add_u64 v[32:33], v[22:23], 0, v[18:19]
	global_load_dword v40, v[32:33], off
	global_load_dword v41, v[32:33], off offset:128
	global_load_dword v42, v[32:33], off offset:256
	;; [unrolled: 1-line block ×3, first 2 shown]
	s_waitcnt vmcnt(9)
	v_mul_f32_e32 v38, v25, v38
	v_mul_f32_e32 v32, 0x3fb8aa3b, v38
	v_fma_f32 v33, v38, s15, -v32
	v_rndne_f32_e32 v44, v32
	v_fmac_f32_e32 v33, 0x32a5705f, v38
	v_sub_f32_e32 v32, v32, v44
	v_add_f32_e32 v32, v32, v33
	v_cvt_i32_f32_e32 v44, v44
	v_exp_f32_e32 v45, v32
	s_waitcnt vmcnt(8)
	v_mul_f32_e32 v32, v25, v39
	v_cmp_ngt_f32_e64 s[0:1], s16, v38
	s_waitcnt vmcnt(6)
	v_pk_mul_f32 v[34:35], v[32:33], v[34:35] op_sel_hi:[0,1]
	v_ldexp_f32 v25, v45, v44
	v_cndmask_b32_e64 v25, 0, v25, s[0:1]
	v_cmp_nlt_f32_e64 s[0:1], s17, v38
	s_waitcnt vmcnt(4)
	v_pk_mul_f32 v[32:33], v[32:33], v[36:37] op_sel_hi:[0,1]
	v_cndmask_b32_e64 v36, v31, v25, s[0:1]
	v_pk_fma_f32 v[8:9], v[36:37], v[8:9], v[34:35] op_sel_hi:[0,1,1]
	s_waitcnt vmcnt(3)
	v_fma_f32 v25, v40, v8, 0
	s_waitcnt vmcnt(2)
	v_fmac_f32_e32 v25, v41, v9
	v_pk_fma_f32 v[6:7], v[36:37], v[6:7], v[32:33] op_sel_hi:[0,1,1]
	s_waitcnt vmcnt(1)
	v_fmac_f32_e32 v25, v42, v6
	s_waitcnt vmcnt(0)
	v_fmac_f32_e32 v25, v43, v7
	ds_bpermute_b32 v32, v26, v25
	s_waitcnt lgkmcnt(0)
	v_add_f32_e32 v25, v25, v32
	ds_bpermute_b32 v32, v27, v25
	s_waitcnt lgkmcnt(0)
	v_add_f32_e32 v25, v25, v32
	;; [unrolled: 3-line block ×4, first 2 shown]
	ds_bpermute_b32 v32, v30, v25
	s_and_saveexec_b64 s[0:1], vcc
	s_cbranch_execz .LBB0_13
; %bb.17:                               ;   in Loop: Header=BB0_14 Depth=1
	s_waitcnt lgkmcnt(0)
	v_add_f32_e32 v25, v25, v32
	global_store_dword v[16:17], v25, off
	s_branch .LBB0_13
.LBB0_18:
	s_add_u32 s0, s18, s20
	s_mul_i32 s2, s37, s34
	s_addc_u32 s1, s19, s21
	s_ashr_i32 s3, s2, 31
	s_add_u32 s0, s0, s2
	s_addc_u32 s1, s1, s3
	v_lshl_add_u64 v[0:1], s[0:1], 0, v[0:1]
	v_lshl_add_u64 v[0:1], v[0:1], 0, v[2:3]
	v_mov_b32_e32 v5, 0
	v_lshl_add_u64 v[0:1], v[0:1], 0, v[4:5]
	s_waitcnt vmcnt(3)
	global_store_dword v[0:1], v8, off
	s_waitcnt vmcnt(3)
	global_store_dword v[0:1], v9, off offset:128
	s_waitcnt vmcnt(3)
	global_store_dword v[0:1], v6, off offset:256
	;; [unrolled: 2-line block ×3, first 2 shown]
	s_endpgm
.LBB0_19:
                                        ; implicit-def: $sgpr2_sgpr3
	s_load_dwordx4 s[28:31], s[0:1], 0x60
	s_branch .LBB0_7
	.section	.rodata,"a",@progbits
	.p2align	6, 0x0
	.amdhsa_kernel _Z18ssm_scan_f32_groupILi4ELi128EEvPKfS1_S1_S1_S1_S1_PKiPfiiiiiiiiiiilllll
		.amdhsa_group_segment_fixed_size 0
		.amdhsa_private_segment_fixed_size 0
		.amdhsa_kernarg_size 152
		.amdhsa_user_sgpr_count 2
		.amdhsa_user_sgpr_dispatch_ptr 0
		.amdhsa_user_sgpr_queue_ptr 0
		.amdhsa_user_sgpr_kernarg_segment_ptr 1
		.amdhsa_user_sgpr_dispatch_id 0
		.amdhsa_user_sgpr_kernarg_preload_length 0
		.amdhsa_user_sgpr_kernarg_preload_offset 0
		.amdhsa_user_sgpr_private_segment_size 0
		.amdhsa_uses_dynamic_stack 0
		.amdhsa_enable_private_segment 0
		.amdhsa_system_sgpr_workgroup_id_x 1
		.amdhsa_system_sgpr_workgroup_id_y 1
		.amdhsa_system_sgpr_workgroup_id_z 0
		.amdhsa_system_sgpr_workgroup_info 0
		.amdhsa_system_vgpr_workitem_id 0
		.amdhsa_next_free_vgpr 47
		.amdhsa_next_free_sgpr 53
		.amdhsa_accum_offset 48
		.amdhsa_reserve_vcc 1
		.amdhsa_float_round_mode_32 0
		.amdhsa_float_round_mode_16_64 0
		.amdhsa_float_denorm_mode_32 3
		.amdhsa_float_denorm_mode_16_64 3
		.amdhsa_dx10_clamp 1
		.amdhsa_ieee_mode 1
		.amdhsa_fp16_overflow 0
		.amdhsa_tg_split 0
		.amdhsa_exception_fp_ieee_invalid_op 0
		.amdhsa_exception_fp_denorm_src 0
		.amdhsa_exception_fp_ieee_div_zero 0
		.amdhsa_exception_fp_ieee_overflow 0
		.amdhsa_exception_fp_ieee_underflow 0
		.amdhsa_exception_fp_ieee_inexact 0
		.amdhsa_exception_int_div_zero 0
	.end_amdhsa_kernel
	.section	.text._Z18ssm_scan_f32_groupILi4ELi128EEvPKfS1_S1_S1_S1_S1_PKiPfiiiiiiiiiiilllll,"axG",@progbits,_Z18ssm_scan_f32_groupILi4ELi128EEvPKfS1_S1_S1_S1_S1_PKiPfiiiiiiiiiiilllll,comdat
.Lfunc_end0:
	.size	_Z18ssm_scan_f32_groupILi4ELi128EEvPKfS1_S1_S1_S1_S1_PKiPfiiiiiiiiiiilllll, .Lfunc_end0-_Z18ssm_scan_f32_groupILi4ELi128EEvPKfS1_S1_S1_S1_S1_PKiPfiiiiiiiiiiilllll
                                        ; -- End function
	.set _Z18ssm_scan_f32_groupILi4ELi128EEvPKfS1_S1_S1_S1_S1_PKiPfiiiiiiiiiiilllll.num_vgpr, 47
	.set _Z18ssm_scan_f32_groupILi4ELi128EEvPKfS1_S1_S1_S1_S1_PKiPfiiiiiiiiiiilllll.num_agpr, 0
	.set _Z18ssm_scan_f32_groupILi4ELi128EEvPKfS1_S1_S1_S1_S1_PKiPfiiiiiiiiiiilllll.numbered_sgpr, 53
	.set _Z18ssm_scan_f32_groupILi4ELi128EEvPKfS1_S1_S1_S1_S1_PKiPfiiiiiiiiiiilllll.num_named_barrier, 0
	.set _Z18ssm_scan_f32_groupILi4ELi128EEvPKfS1_S1_S1_S1_S1_PKiPfiiiiiiiiiiilllll.private_seg_size, 0
	.set _Z18ssm_scan_f32_groupILi4ELi128EEvPKfS1_S1_S1_S1_S1_PKiPfiiiiiiiiiiilllll.uses_vcc, 1
	.set _Z18ssm_scan_f32_groupILi4ELi128EEvPKfS1_S1_S1_S1_S1_PKiPfiiiiiiiiiiilllll.uses_flat_scratch, 0
	.set _Z18ssm_scan_f32_groupILi4ELi128EEvPKfS1_S1_S1_S1_S1_PKiPfiiiiiiiiiiilllll.has_dyn_sized_stack, 0
	.set _Z18ssm_scan_f32_groupILi4ELi128EEvPKfS1_S1_S1_S1_S1_PKiPfiiiiiiiiiiilllll.has_recursion, 0
	.set _Z18ssm_scan_f32_groupILi4ELi128EEvPKfS1_S1_S1_S1_S1_PKiPfiiiiiiiiiiilllll.has_indirect_call, 0
	.section	.AMDGPU.csdata,"",@progbits
; Kernel info:
; codeLenInByte = 4200
; TotalNumSgprs: 59
; NumVgprs: 47
; NumAgprs: 0
; TotalNumVgprs: 47
; ScratchSize: 0
; MemoryBound: 0
; FloatMode: 240
; IeeeMode: 1
; LDSByteSize: 0 bytes/workgroup (compile time only)
; SGPRBlocks: 7
; VGPRBlocks: 5
; NumSGPRsForWavesPerEU: 59
; NumVGPRsForWavesPerEU: 47
; AccumOffset: 48
; Occupancy: 8
; WaveLimiterHint : 1
; COMPUTE_PGM_RSRC2:SCRATCH_EN: 0
; COMPUTE_PGM_RSRC2:USER_SGPR: 2
; COMPUTE_PGM_RSRC2:TRAP_HANDLER: 0
; COMPUTE_PGM_RSRC2:TGID_X_EN: 1
; COMPUTE_PGM_RSRC2:TGID_Y_EN: 1
; COMPUTE_PGM_RSRC2:TGID_Z_EN: 0
; COMPUTE_PGM_RSRC2:TIDIG_COMP_CNT: 0
; COMPUTE_PGM_RSRC3_GFX90A:ACCUM_OFFSET: 11
; COMPUTE_PGM_RSRC3_GFX90A:TG_SPLIT: 0
	.section	.text._Z18ssm_scan_f32_groupILi8ELi256EEvPKfS1_S1_S1_S1_S1_PKiPfiiiiiiiiiiilllll,"axG",@progbits,_Z18ssm_scan_f32_groupILi8ELi256EEvPKfS1_S1_S1_S1_S1_PKiPfiiiiiiiiiiilllll,comdat
	.protected	_Z18ssm_scan_f32_groupILi8ELi256EEvPKfS1_S1_S1_S1_S1_PKiPfiiiiiiiiiiilllll ; -- Begin function _Z18ssm_scan_f32_groupILi8ELi256EEvPKfS1_S1_S1_S1_S1_PKiPfiiiiiiiiiiilllll
	.globl	_Z18ssm_scan_f32_groupILi8ELi256EEvPKfS1_S1_S1_S1_S1_PKiPfiiiiiiiiiiilllll
	.p2align	8
	.type	_Z18ssm_scan_f32_groupILi8ELi256EEvPKfS1_S1_S1_S1_S1_PKiPfiiiiiiiiiiilllll,@function
_Z18ssm_scan_f32_groupILi8ELi256EEvPKfS1_S1_S1_S1_S1_PKiPfiiiiiiiiiiilllll: ; @_Z18ssm_scan_f32_groupILi8ELi256EEvPKfS1_S1_S1_S1_S1_PKiPfiiiiiiiiiiilllll
; %bb.0:
	s_load_dwordx8 s[20:27], s[0:1], 0x70
	s_load_dwordx2 s[44:45], s[0:1], 0x90
	v_lshrrev_b32_e32 v1, 5, v0
	v_lshl_or_b32 v14, s2, 3, v1
	v_ashrrev_i32_e32 v15, 31, v14
	s_waitcnt lgkmcnt(0)
	v_or_b32_e32 v3, s25, v15
	v_mov_b32_e32 v2, 0
	s_mov_b32 s34, s3
	v_cmp_ne_u64_e32 vcc, 0, v[2:3]
                                        ; implicit-def: $vgpr16_vgpr17
	s_and_saveexec_b64 s[2:3], vcc
	s_xor_b64 s[4:5], exec, s[2:3]
	s_cbranch_execz .LBB1_2
; %bb.1:
	s_ashr_i32 s6, s25, 31
	s_add_u32 s2, s24, s6
	s_mov_b32 s7, s6
	s_addc_u32 s3, s25, s6
	s_xor_b64 s[8:9], s[2:3], s[6:7]
	v_cvt_f32_u32_e32 v1, s8
	v_cvt_f32_u32_e32 v3, s9
	s_sub_u32 s7, 0, s8
	s_subb_u32 s10, 0, s9
	v_ashrrev_i32_e32 v4, 31, v15
	v_fmamk_f32 v1, v3, 0x4f800000, v1
	v_rcp_f32_e32 v1, v1
	v_mov_b32_e32 v5, v4
	v_lshl_add_u64 v[6:7], v[14:15], 0, v[4:5]
	v_xor_b32_e32 v5, v6, v4
	v_mul_f32_e32 v1, 0x5f7ffffc, v1
	v_mul_f32_e32 v3, 0x2f800000, v1
	v_trunc_f32_e32 v3, v3
	v_fmamk_f32 v1, v3, 0xcf800000, v1
	v_cvt_u32_f32_e32 v3, v3
	v_cvt_u32_f32_e32 v1, v1
	v_mov_b32_e32 v9, v2
	v_readfirstlane_b32 s11, v3
	v_readfirstlane_b32 s2, v1
	s_mul_i32 s3, s7, s11
	s_mul_hi_u32 s13, s7, s2
	s_mul_i32 s12, s10, s2
	s_add_i32 s3, s13, s3
	s_add_i32 s3, s3, s12
	s_mul_i32 s14, s7, s2
	s_mul_i32 s13, s2, s3
	s_mul_hi_u32 s15, s2, s14
	s_mul_hi_u32 s12, s2, s3
	s_add_u32 s13, s15, s13
	s_addc_u32 s12, 0, s12
	s_mul_hi_u32 s16, s11, s14
	s_mul_i32 s14, s11, s14
	s_add_u32 s13, s13, s14
	s_mul_hi_u32 s15, s11, s3
	s_addc_u32 s12, s12, s16
	s_addc_u32 s13, s15, 0
	s_mul_i32 s3, s11, s3
	s_add_u32 s3, s12, s3
	s_addc_u32 s12, 0, s13
	s_add_u32 s13, s2, s3
	s_cselect_b64 s[2:3], -1, 0
	s_cmp_lg_u64 s[2:3], 0
	s_addc_u32 s11, s11, s12
	s_mul_i32 s2, s7, s11
	s_mul_hi_u32 s3, s7, s13
	s_add_i32 s2, s3, s2
	s_mul_i32 s10, s10, s13
	s_add_i32 s2, s2, s10
	s_mul_i32 s7, s7, s13
	s_mul_hi_u32 s10, s11, s7
	s_mul_i32 s12, s11, s7
	s_mul_i32 s15, s13, s2
	s_mul_hi_u32 s7, s13, s7
	s_mul_hi_u32 s14, s13, s2
	s_add_u32 s7, s7, s15
	s_addc_u32 s14, 0, s14
	s_add_u32 s7, s7, s12
	s_mul_hi_u32 s3, s11, s2
	s_addc_u32 s7, s14, s10
	s_addc_u32 s3, s3, 0
	s_mul_i32 s2, s11, s2
	s_add_u32 s2, s7, s2
	s_addc_u32 s7, 0, s3
	s_add_u32 s10, s13, s2
	s_cselect_b64 s[2:3], -1, 0
	s_cmp_lg_u64 s[2:3], 0
	s_addc_u32 s7, s11, s7
	v_xor_b32_e32 v1, v7, v4
	v_mad_u64_u32 v[6:7], s[2:3], v5, s7, 0
	v_mul_hi_u32 v8, v5, s10
	v_lshl_add_u64 v[6:7], v[8:9], 0, v[6:7]
	v_mad_u64_u32 v[10:11], s[2:3], v1, s10, 0
	v_add_co_u32_e32 v3, vcc, v6, v10
	v_mad_u64_u32 v[8:9], s[2:3], v1, s7, 0
	s_nop 0
	v_addc_co_u32_e32 v6, vcc, v7, v11, vcc
	v_mov_b32_e32 v7, v2
	s_nop 0
	v_addc_co_u32_e32 v9, vcc, 0, v9, vcc
	v_lshl_add_u64 v[2:3], v[6:7], 0, v[8:9]
	v_mul_lo_u32 v8, s9, v2
	v_mul_lo_u32 v9, s8, v3
	v_mad_u64_u32 v[6:7], s[2:3], s8, v2, 0
	v_add3_u32 v10, v7, v9, v8
	v_sub_u32_e32 v7, v1, v10
	v_mov_b32_e32 v8, s9
	v_sub_co_u32_e32 v5, vcc, v5, v6
	s_nop 1
	v_subb_co_u32_e64 v6, s[2:3], v7, v8, vcc
	v_subrev_co_u32_e64 v7, s[2:3], s8, v5
	v_subb_co_u32_e32 v1, vcc, v1, v10, vcc
	s_nop 0
	v_subbrev_co_u32_e64 v6, s[2:3], 0, v6, s[2:3]
	v_cmp_le_u32_e64 s[2:3], s9, v6
	v_cmp_le_u32_e32 vcc, s9, v1
	s_nop 0
	v_cndmask_b32_e64 v8, 0, -1, s[2:3]
	v_cmp_le_u32_e64 s[2:3], s8, v7
	s_nop 1
	v_cndmask_b32_e64 v7, 0, -1, s[2:3]
	v_cmp_eq_u32_e64 s[2:3], s9, v6
	s_nop 1
	v_cndmask_b32_e64 v11, v8, v7, s[2:3]
	v_lshl_add_u64 v[6:7], v[2:3], 0, 2
	v_lshl_add_u64 v[8:9], v[2:3], 0, 1
	v_cndmask_b32_e64 v3, 0, -1, vcc
	v_cmp_le_u32_e32 vcc, s8, v5
	s_nop 1
	v_cndmask_b32_e64 v5, 0, -1, vcc
	v_cmp_eq_u32_e32 vcc, s9, v1
	s_nop 1
	v_cndmask_b32_e32 v1, v3, v5, vcc
	v_cmp_ne_u32_e32 vcc, 0, v11
	s_nop 1
	v_cndmask_b32_e32 v3, v8, v6, vcc
	v_cmp_ne_u32_e32 vcc, 0, v1
	s_nop 1
	v_cndmask_b32_e32 v1, v2, v3, vcc
	v_xor_b32_e32 v2, s6, v4
	v_xor_b32_e32 v1, v1, v2
	v_sub_co_u32_e32 v16, vcc, v1, v2
.LBB1_2:
	s_andn2_saveexec_b64 s[2:3], s[4:5]
	s_cbranch_execz .LBB1_4
; %bb.3:
	v_cvt_f32_u32_e32 v1, s24
	s_sub_i32 s4, 0, s24
	v_rcp_iflag_f32_e32 v1, v1
	s_nop 0
	v_mul_f32_e32 v1, 0x4f7ffffe, v1
	v_cvt_u32_f32_e32 v1, v1
	v_mul_lo_u32 v2, s4, v1
	v_mul_hi_u32 v2, v1, v2
	v_add_u32_e32 v1, v1, v2
	v_mul_hi_u32 v1, v14, v1
	v_mul_lo_u32 v2, v1, s24
	v_sub_u32_e32 v2, v14, v2
	v_add_u32_e32 v3, 1, v1
	v_subrev_u32_e32 v4, s24, v2
	v_cmp_le_u32_e32 vcc, s24, v2
	s_nop 1
	v_cndmask_b32_e32 v2, v2, v4, vcc
	v_cndmask_b32_e32 v1, v1, v3, vcc
	v_add_u32_e32 v3, 1, v1
	v_cmp_le_u32_e32 vcc, s24, v2
	s_nop 1
	v_cndmask_b32_e32 v16, v1, v3, vcc
.LBB1_4:
	s_or_b64 exec, exec, s[2:3]
	s_load_dwordx16 s[4:19], s[0:1], 0x0
	s_load_dwordx8 s[36:43], s[0:1], 0x40
	s_ashr_i32 s35, s34, 31
	s_lshl_b64 s[2:3], s[34:35], 2
	v_and_b32_e32 v24, 31, v0
	s_waitcnt lgkmcnt(0)
	s_add_u32 s2, s16, s2
	s_addc_u32 s3, s17, s3
	s_load_dword s2, s[2:3], 0x0
	v_mul_lo_u32 v0, v16, s24
	v_sub_u32_e32 v2, v14, v0
	v_mul_lo_u32 v0, s36, v16
	v_ashrrev_i32_e32 v1, 31, v0
	s_waitcnt lgkmcnt(0)
	s_mul_i32 s2, s2, s37
	s_ashr_i32 s3, s2, 31
	s_add_u32 s2, s4, s2
	s_addc_u32 s3, s5, s3
	v_lshlrev_b32_e32 v2, 10, v2
	v_lshl_add_u64 v[4:5], s[2:3], 0, v[0:1]
	v_ashrrev_i32_e32 v3, 31, v2
	v_lshl_add_u64 v[6:7], v[4:5], 0, v[2:3]
	v_mov_b32_e32 v5, 0
	v_lshlrev_b32_e32 v4, 2, v24
	v_lshl_add_u64 v[18:19], v[6:7], 0, v[4:5]
	global_load_dword v12, v[18:19], off
	global_load_dword v13, v[18:19], off offset:128
	global_load_dword v10, v[18:19], off offset:256
	;; [unrolled: 1-line block ×7, first 2 shown]
	v_cmp_lt_i64_e64 s[2:3], s[44:45], 1
	s_and_b64 vcc, exec, s[2:3]
	s_cbranch_vccnz .LBB1_18
; %bb.5:
	s_or_b64 s[2:3], s[22:23], s[26:27]
	s_mov_b32 s2, 0
	s_cmp_lg_u64 s[2:3], 0
	s_cbranch_scc0 .LBB1_19
; %bb.6:
	s_ashr_i32 s2, s27, 31
	s_add_u32 s4, s26, s2
	s_mov_b32 s3, s2
	s_addc_u32 s5, s27, s2
	s_xor_b64 s[16:17], s[4:5], s[2:3]
	v_cvt_f32_u32_e32 v5, s16
	v_cvt_f32_u32_e32 v17, s17
	s_sub_u32 s27, 0, s16
	s_subb_u32 s30, 0, s17
	v_fmamk_f32 v5, v17, 0x4f800000, v5
	v_rcp_f32_e32 v5, v5
	s_nop 0
	v_mul_f32_e32 v5, 0x5f7ffffc, v5
	v_mul_f32_e32 v17, 0x2f800000, v5
	v_trunc_f32_e32 v17, v17
	v_fmamk_f32 v5, v17, 0xcf800000, v5
	v_cvt_u32_f32_e32 v17, v17
	v_cvt_u32_f32_e32 v5, v5
	v_readfirstlane_b32 s31, v17
	v_readfirstlane_b32 s28, v5
	s_mul_i32 s29, s27, s31
	s_mul_hi_u32 s36, s27, s28
	s_mul_i32 s33, s30, s28
	s_add_i32 s29, s36, s29
	s_add_i32 s29, s29, s33
	s_mul_i32 s46, s27, s28
	s_mul_i32 s36, s28, s29
	s_mul_hi_u32 s47, s28, s46
	s_mul_hi_u32 s33, s28, s29
	s_add_u32 s36, s47, s36
	s_addc_u32 s33, 0, s33
	s_mul_hi_u32 s48, s31, s46
	s_mul_i32 s46, s31, s46
	s_add_u32 s36, s36, s46
	s_mul_hi_u32 s47, s31, s29
	s_addc_u32 s33, s33, s48
	s_addc_u32 s36, s47, 0
	s_mul_i32 s29, s31, s29
	s_add_u32 s29, s33, s29
	s_addc_u32 s33, 0, s36
	s_add_u32 s36, s28, s29
	s_cselect_b64 s[28:29], -1, 0
	s_cmp_lg_u64 s[28:29], 0
	s_addc_u32 s31, s31, s33
	s_mul_i32 s28, s27, s31
	s_mul_hi_u32 s29, s27, s36
	s_add_i32 s28, s29, s28
	s_mul_i32 s30, s30, s36
	s_add_i32 s28, s28, s30
	s_mul_i32 s27, s27, s36
	s_mul_hi_u32 s30, s31, s27
	s_mul_i32 s33, s31, s27
	s_mul_i32 s47, s36, s28
	s_mul_hi_u32 s27, s36, s27
	s_mul_hi_u32 s46, s36, s28
	s_add_u32 s27, s27, s47
	s_addc_u32 s46, 0, s46
	s_add_u32 s27, s27, s33
	s_mul_hi_u32 s29, s31, s28
	s_addc_u32 s27, s46, s30
	s_addc_u32 s29, s29, 0
	s_mul_i32 s28, s31, s28
	s_add_u32 s27, s27, s28
	s_addc_u32 s30, 0, s29
	s_add_u32 s27, s36, s27
	s_cselect_b64 s[28:29], -1, 0
	s_cmp_lg_u64 s[28:29], 0
	s_addc_u32 s33, s31, s30
	s_ashr_i32 s28, s23, 31
	s_add_u32 s30, s22, s28
	s_mov_b32 s29, s28
	s_addc_u32 s31, s23, s28
	s_xor_b64 s[30:31], s[30:31], s[28:29]
	s_mul_i32 s46, s30, s33
	s_mul_hi_u32 s47, s30, s27
	s_mul_hi_u32 s36, s30, s33
	s_add_u32 s46, s47, s46
	s_addc_u32 s36, 0, s36
	s_mul_hi_u32 s48, s31, s27
	s_mul_i32 s27, s31, s27
	s_add_u32 s27, s46, s27
	s_mul_hi_u32 s47, s31, s33
	s_addc_u32 s27, s36, s48
	s_addc_u32 s36, s47, 0
	s_mul_i32 s33, s31, s33
	s_add_u32 s27, s27, s33
	s_addc_u32 s33, 0, s36
	s_mul_i32 s36, s16, s33
	s_mul_hi_u32 s46, s16, s27
	s_add_i32 s36, s46, s36
	s_mul_i32 s46, s17, s27
	s_add_i32 s36, s36, s46
	s_sub_i32 s48, s31, s36
	s_mul_i32 s46, s16, s27
	s_sub_u32 s30, s30, s46
	s_cselect_b64 s[46:47], -1, 0
	s_cmp_lg_u64 s[46:47], 0
	s_subb_u32 s50, s48, s17
	s_sub_u32 s51, s30, s16
	s_cselect_b64 s[48:49], -1, 0
	s_cmp_lg_u64 s[48:49], 0
	s_subb_u32 s48, s50, 0
	s_cmp_ge_u32 s48, s17
	s_cselect_b32 s49, -1, 0
	s_cmp_ge_u32 s51, s16
	s_cselect_b32 s50, -1, 0
	s_cmp_eq_u32 s48, s17
	s_cselect_b32 s48, s50, s49
	s_add_u32 s49, s27, 1
	s_addc_u32 s50, s33, 0
	s_add_u32 s51, s27, 2
	s_addc_u32 s52, s33, 0
	s_cmp_lg_u32 s48, 0
	s_cselect_b32 s48, s51, s49
	s_cselect_b32 s49, s52, s50
	s_cmp_lg_u64 s[46:47], 0
	s_subb_u32 s31, s31, s36
	s_cmp_ge_u32 s31, s17
	s_cselect_b32 s36, -1, 0
	s_cmp_ge_u32 s30, s16
	s_cselect_b32 s16, -1, 0
	s_cmp_eq_u32 s31, s17
	s_cselect_b32 s16, s16, s36
	s_cmp_lg_u32 s16, 0
	s_cselect_b32 s17, s49, s33
	s_cselect_b32 s16, s48, s27
	s_xor_b64 s[2:3], s[28:29], s[2:3]
	s_xor_b64 s[16:17], s[16:17], s[2:3]
	s_sub_u32 s2, s16, s2
	s_subb_u32 s3, s17, s3
	s_load_dwordx4 s[28:31], s[0:1], 0x60
	s_cbranch_execnz .LBB1_8
.LBB1_7:
	v_cvt_f32_u32_e32 v5, s26
	s_sub_i32 s0, 0, s26
	s_mov_b32 s3, 0
	v_rcp_iflag_f32_e32 v5, v5
	s_nop 0
	v_mul_f32_e32 v5, 0x4f7ffffe, v5
	v_cvt_u32_f32_e32 v5, v5
	s_nop 0
	v_readfirstlane_b32 s1, v5
	s_mul_i32 s0, s0, s1
	s_mul_hi_u32 s0, s1, s0
	s_add_i32 s1, s1, s0
	s_mul_hi_u32 s0, s22, s1
	s_mul_i32 s2, s0, s26
	s_sub_i32 s2, s22, s2
	s_add_i32 s1, s0, 1
	s_sub_i32 s4, s2, s26
	s_cmp_ge_u32 s2, s26
	s_cselect_b32 s0, s1, s0
	s_cselect_b32 s2, s4, s2
	s_add_i32 s1, s0, 1
	s_cmp_ge_u32 s2, s26
	s_cselect_b32 s2, s1, s0
.LBB1_8:
	v_ashrrev_i32_e32 v17, 31, v16
	v_mov_b32_e32 v18, 0
	v_or_b32_e32 v19, s3, v17
	v_cmp_ne_u64_e32 vcc, 0, v[18:19]
                                        ; implicit-def: $vgpr22_vgpr23
	s_and_saveexec_b64 s[0:1], vcc
	s_xor_b64 s[4:5], exec, s[0:1]
	s_cbranch_execz .LBB1_10
; %bb.9:
	s_ashr_i32 s16, s3, 31
	s_add_u32 s0, s2, s16
	s_mov_b32 s17, s16
	s_addc_u32 s1, s3, s16
	s_xor_b64 s[26:27], s[0:1], s[16:17]
	v_cvt_f32_u32_e32 v5, s26
	v_cvt_f32_u32_e32 v19, s27
	s_sub_u32 s3, 0, s26
	s_subb_u32 s17, 0, s27
	v_ashrrev_i32_e32 v20, 31, v17
	v_fmamk_f32 v5, v19, 0x4f800000, v5
	v_rcp_f32_e32 v5, v5
	v_mov_b32_e32 v21, v20
	v_lshl_add_u64 v[22:23], v[16:17], 0, v[20:21]
	v_xor_b32_e32 v17, v22, v20
	v_mul_f32_e32 v5, 0x5f7ffffc, v5
	v_mul_f32_e32 v19, 0x2f800000, v5
	v_trunc_f32_e32 v19, v19
	v_fmamk_f32 v5, v19, 0xcf800000, v5
	v_cvt_u32_f32_e32 v19, v19
	v_cvt_u32_f32_e32 v5, v5
	v_mov_b32_e32 v27, v18
	v_mov_b32_e32 v25, s27
	s_waitcnt lgkmcnt(0)
	v_readfirstlane_b32 s31, v19
	v_readfirstlane_b32 s0, v5
	s_mul_i32 s1, s3, s31
	s_mul_hi_u32 s36, s3, s0
	s_mul_i32 s33, s17, s0
	s_add_i32 s1, s36, s1
	s_add_i32 s1, s1, s33
	s_mul_i32 s46, s3, s0
	s_mul_i32 s36, s0, s1
	s_mul_hi_u32 s47, s0, s46
	s_mul_hi_u32 s33, s0, s1
	s_add_u32 s36, s47, s36
	s_addc_u32 s33, 0, s33
	s_mul_hi_u32 s48, s31, s46
	s_mul_i32 s46, s31, s46
	s_add_u32 s36, s36, s46
	s_mul_hi_u32 s47, s31, s1
	s_addc_u32 s33, s33, s48
	s_addc_u32 s36, s47, 0
	s_mul_i32 s1, s31, s1
	s_add_u32 s1, s33, s1
	s_addc_u32 s33, 0, s36
	s_add_u32 s36, s0, s1
	s_cselect_b64 s[0:1], -1, 0
	s_cmp_lg_u64 s[0:1], 0
	s_addc_u32 s31, s31, s33
	s_mul_i32 s0, s3, s31
	s_mul_hi_u32 s1, s3, s36
	s_add_i32 s0, s1, s0
	s_mul_i32 s17, s17, s36
	s_add_i32 s0, s0, s17
	s_mul_i32 s3, s3, s36
	s_mul_hi_u32 s17, s31, s3
	s_mul_i32 s33, s31, s3
	s_mul_i32 s47, s36, s0
	s_mul_hi_u32 s3, s36, s3
	s_mul_hi_u32 s46, s36, s0
	s_add_u32 s3, s3, s47
	s_addc_u32 s46, 0, s46
	s_add_u32 s3, s3, s33
	s_mul_hi_u32 s1, s31, s0
	s_addc_u32 s3, s46, s17
	s_addc_u32 s1, s1, 0
	s_mul_i32 s0, s31, s0
	s_add_u32 s0, s3, s0
	s_addc_u32 s3, 0, s1
	s_add_u32 s17, s36, s0
	s_cselect_b64 s[0:1], -1, 0
	s_cmp_lg_u64 s[0:1], 0
	s_addc_u32 s3, s31, s3
	v_xor_b32_e32 v5, v23, v20
	v_mad_u64_u32 v[22:23], s[0:1], v17, s3, 0
	v_mul_hi_u32 v26, v17, s17
	v_lshl_add_u64 v[22:23], v[26:27], 0, v[22:23]
	v_mad_u64_u32 v[28:29], s[0:1], v5, s17, 0
	v_add_co_u32_e32 v19, vcc, v22, v28
	v_mad_u64_u32 v[26:27], s[0:1], v5, s3, 0
	s_nop 0
	v_addc_co_u32_e32 v22, vcc, v23, v29, vcc
	v_mov_b32_e32 v23, v18
	s_nop 0
	v_addc_co_u32_e32 v27, vcc, 0, v27, vcc
	v_lshl_add_u64 v[22:23], v[22:23], 0, v[26:27]
	v_mul_lo_u32 v19, s27, v22
	v_mul_lo_u32 v21, s26, v23
	v_mad_u64_u32 v[26:27], s[0:1], s26, v22, 0
	v_add3_u32 v19, v27, v21, v19
	v_sub_u32_e32 v21, v5, v19
	v_sub_co_u32_e32 v17, vcc, v17, v26
	v_lshl_add_u64 v[28:29], v[22:23], 0, 1
	s_nop 0
	v_subb_co_u32_e64 v21, s[0:1], v21, v25, vcc
	v_subrev_co_u32_e64 v25, s[0:1], s26, v17
	v_subb_co_u32_e32 v5, vcc, v5, v19, vcc
	s_nop 0
	v_subbrev_co_u32_e64 v21, s[0:1], 0, v21, s[0:1]
	v_cmp_le_u32_e64 s[0:1], s27, v21
	v_cmp_le_u32_e32 vcc, s27, v5
	s_nop 0
	v_cndmask_b32_e64 v26, 0, -1, s[0:1]
	v_cmp_le_u32_e64 s[0:1], s26, v25
	v_cndmask_b32_e64 v19, 0, -1, vcc
	v_cmp_le_u32_e32 vcc, s26, v17
	v_cndmask_b32_e64 v25, 0, -1, s[0:1]
	v_cmp_eq_u32_e64 s[0:1], s27, v21
	v_cndmask_b32_e64 v17, 0, -1, vcc
	v_cmp_eq_u32_e32 vcc, s27, v5
	v_cndmask_b32_e64 v21, v26, v25, s[0:1]
	v_lshl_add_u64 v[26:27], v[22:23], 0, 2
	v_cndmask_b32_e32 v5, v19, v17, vcc
	v_cmp_ne_u32_e32 vcc, 0, v21
	s_nop 1
	v_cndmask_b32_e32 v17, v28, v26, vcc
	v_cmp_ne_u32_e32 vcc, 0, v5
	s_nop 1
	v_cndmask_b32_e32 v5, v22, v17, vcc
	v_xor_b32_e32 v17, s16, v20
	v_xor_b32_e32 v5, v5, v17
	v_sub_co_u32_e32 v22, vcc, v5, v17
.LBB1_10:
	s_or_saveexec_b64 s[0:1], s[4:5]
	v_mov_b32_e32 v19, v16
	s_xor_b64 exec, exec, s[0:1]
	s_cbranch_execz .LBB1_12
; %bb.11:
	v_cvt_f32_u32_e32 v5, s2
	s_sub_i32 s3, 0, s2
	v_rcp_iflag_f32_e32 v5, v5
	s_nop 0
	v_mul_f32_e32 v5, 0x4f7ffffe, v5
	v_cvt_u32_f32_e32 v5, v5
	v_mul_lo_u32 v17, s3, v5
	v_mul_hi_u32 v17, v5, v17
	v_add_u32_e32 v5, v5, v17
	v_mul_hi_u32 v5, v19, v5
	v_mul_lo_u32 v17, v5, s2
	v_sub_u32_e32 v17, v19, v17
	v_add_u32_e32 v20, 1, v5
	v_subrev_u32_e32 v21, s2, v17
	v_cmp_le_u32_e32 vcc, s2, v17
	s_nop 1
	v_cndmask_b32_e32 v17, v17, v21, vcc
	v_cndmask_b32_e32 v5, v5, v20, vcc
	v_add_u32_e32 v20, 1, v5
	v_cmp_le_u32_e32 vcc, s2, v17
	s_nop 1
	v_cndmask_b32_e32 v22, v5, v20, vcc
.LBB1_12:
	s_or_b64 exec, exec, s[0:1]
	s_mul_i32 s2, s24, s23
	s_mul_hi_u32 s4, s24, s22
	s_add_i32 s2, s4, s2
	s_mul_i32 s4, s25, s22
	s_add_i32 s4, s2, s4
	s_mul_i32 s2, s24, s22
	s_mul_i32 s5, s2, s35
	s_mul_hi_u32 s22, s2, s34
	s_add_i32 s5, s22, s5
	s_mul_i32 s4, s4, s34
	s_mul_i32 s22, s2, s34
	s_add_i32 s4, s5, s4
	s_mul_i32 s5, s22, s45
	s_mul_hi_u32 s23, s22, s44
	s_mul_i32 s4, s4, s44
	s_add_i32 s5, s23, s5
	s_waitcnt lgkmcnt(0)
	s_mul_i32 s26, s30, s34
	s_mul_i32 s1, s39, s34
	;; [unrolled: 1-line block ×3, first 2 shown]
	s_add_i32 s5, s5, s4
	s_mul_i32 s4, s22, s44
	s_ashr_i32 s0, s43, 2
	s_ashr_i32 s16, s38, 2
	;; [unrolled: 1-line block ×5, first 2 shown]
	s_lshl_b64 s[4:5], s[4:5], 2
	s_add_u32 s4, s18, s4
	s_addc_u32 s5, s19, s5
	s_add_u32 s6, s6, s1
	v_lshlrev_b64 v[20:21], 2, v[14:15]
	s_addc_u32 s7, s7, s3
	v_mbcnt_lo_u32_b32 v5, -1, 0
	v_mul_lo_u32 v26, s42, v16
	v_lshl_add_u64 v[14:15], s[6:7], 0, v[20:21]
	s_add_u32 s6, s8, s17
	v_mbcnt_hi_u32_b32 v5, -1, v5
	v_ashrrev_i64 v[18:19], 30, v[18:19]
	v_ashrrev_i32_e32 v27, 31, v26
	s_addc_u32 s7, s9, s30
	v_and_b32_e32 v25, 0x60, v5
	v_lshl_add_u64 v[16:17], s[6:7], 0, v[18:19]
	v_lshl_add_u64 v[18:19], s[10:11], 0, v[26:27]
	v_add_u32_e32 v25, 32, v25
	v_xor_b32_e32 v26, 16, v5
	v_cmp_lt_i32_e32 vcc, v26, v25
	v_lshl_add_u64 v[20:21], s[4:5], 0, v[20:21]
	s_ashr_i32 s4, s40, 2
	v_cndmask_b32_e32 v26, v5, v26, vcc
	v_lshlrev_b32_e32 v30, 2, v26
	v_xor_b32_e32 v26, 8, v5
	v_cmp_lt_i32_e32 vcc, v26, v25
	s_mul_i32 s8, s28, s34
	s_ashr_i32 s10, s29, 2
	v_cndmask_b32_e32 v26, v5, v26, vcc
	v_lshlrev_b32_e32 v31, 2, v26
	v_xor_b32_e32 v26, 4, v5
	v_cmp_lt_i32_e32 vcc, v26, v25
	s_ashr_i32 s5, s4, 31
	s_ashr_i32 s17, s16, 31
	v_cndmask_b32_e32 v26, v5, v26, vcc
	v_lshlrev_b32_e32 v32, 2, v26
	v_xor_b32_e32 v26, 2, v5
	v_cmp_lt_i32_e32 vcc, v26, v25
	s_bfe_i64 s[2:3], s[2:3], 0x200000
	s_ashr_i32 s9, s8, 31
	v_cndmask_b32_e32 v26, v5, v26, vcc
	v_lshlrev_b32_e32 v33, 2, v26
	v_xor_b32_e32 v26, 1, v5
	s_ashr_i32 s1, s0, 31
	s_ashr_i32 s11, s10, 31
	v_cmp_lt_i32_e32 vcc, v26, v25
	s_lshl_b64 s[2:3], s[2:3], 2
	s_lshl_b64 s[4:5], s[4:5], 2
	;; [unrolled: 1-line block ×3, first 2 shown]
	v_cndmask_b32_e32 v5, v5, v26, vcc
	s_add_u32 s8, s12, s8
	v_lshlrev_b32_e32 v34, 2, v5
	v_mov_b32_e32 v5, 0
	s_addc_u32 s9, s13, s9
	v_cmp_eq_u32_e32 vcc, 0, v24
	v_lshl_add_u64 v[24:25], s[8:9], 0, v[4:5]
	s_lshl_b64 s[8:9], s[0:1], 2
	s_add_u32 s0, s14, s26
	v_lshlrev_b32_e32 v22, 10, v22
	s_addc_u32 s1, s15, s27
                                        ; implicit-def: $vgpr28
	v_ashrrev_i32_e32 v23, 31, v22
	v_lshl_add_u64 v[26:27], s[0:1], 0, v[4:5]
	s_lshl_b64 s[10:11], s[10:11], 2
	s_mov_b32 s14, 0x41a00000
	s_mov_b32 s15, 0x3fb8aa3b
	;; [unrolled: 1-line block ×6, first 2 shown]
	v_mov_b32_e32 v5, 0x3ecc95a3
	s_mov_b32 s24, 0x3f317218
	s_mov_b32 s25, 0x33800000
	v_mov_b32_e32 v35, 0x7f800000
	v_mov_b32_e32 v28, 0x3f317218
	s_branch .LBB1_14
.LBB1_13:                               ;   in Loop: Header=BB1_14 Depth=1
	s_or_b64 exec, exec, s[0:1]
	s_add_u32 s44, s44, -1
	s_addc_u32 s45, s45, -1
	v_lshl_add_u64 v[20:21], v[20:21], 0, s[2:3]
	v_lshl_add_u64 v[16:17], v[16:17], 0, s[4:5]
	;; [unrolled: 1-line block ×4, first 2 shown]
	s_cmp_eq_u64 s[44:45], 0
	v_lshl_add_u64 v[26:27], v[26:27], 0, s[10:11]
	s_cbranch_scc1 .LBB1_18
.LBB1_14:                               ; =>This Inner Loop Header: Depth=1
	global_load_dword v29, v[16:17], off
	s_waitcnt vmcnt(0)
	v_cmp_ge_f32_e64 s[0:1], s14, v29
	s_and_saveexec_b64 s[12:13], s[0:1]
	s_cbranch_execz .LBB1_16
; %bb.15:                               ;   in Loop: Header=BB1_14 Depth=1
	s_waitcnt lgkmcnt(0)
	v_mul_f32_e32 v36, 0x3fb8aa3b, v29
	v_rndne_f32_e32 v37, v36
	v_sub_f32_e32 v38, v36, v37
	v_fma_f32 v36, v29, s15, -v36
	v_fmac_f32_e32 v36, 0x32a5705f, v29
	v_add_f32_e32 v36, v38, v36
	v_cvt_i32_f32_e32 v37, v37
	v_exp_f32_e32 v36, v36
	v_cmp_ngt_f32_e64 s[0:1], s16, v29
	v_ldexp_f32 v36, v36, v37
	s_nop 0
	v_cndmask_b32_e64 v36, 0, v36, s[0:1]
	v_cmp_nlt_f32_e64 s[0:1], s17, v29
	s_nop 1
	v_cndmask_b32_e64 v50, v35, v36, s[0:1]
	v_add_f32_e32 v29, 1.0, v50
	v_add_f32_e32 v36, -1.0, v29
	v_sub_f32_e32 v37, v36, v29
	v_add_f32_e32 v37, 1.0, v37
	v_sub_f32_e32 v36, v50, v36
	v_add_f32_e32 v38, v36, v37
	v_frexp_mant_f32_e32 v39, v29
	v_cvt_f64_f32_e32 v[36:37], v29
	v_frexp_exp_i32_f64_e32 v36, v[36:37]
	v_cmp_gt_f32_e64 s[0:1], s23, v39
	s_nop 1
	v_subbrev_co_u32_e64 v44, s[0:1], 0, v36, s[0:1]
	v_sub_u32_e32 v36, 0, v44
	v_ldexp_f32 v29, v29, v36
	v_ldexp_f32 v36, v38, v36
	v_add_f32_e32 v38, -1.0, v29
	v_add_f32_e32 v37, 1.0, v38
	v_sub_f32_e32 v37, v29, v37
	v_add_f32_e32 v39, v36, v37
	v_add_f32_e32 v37, 1.0, v29
	v_add_f32_e32 v40, -1.0, v37
	v_sub_f32_e32 v29, v29, v40
	v_add_f32_e32 v29, v36, v29
	v_add_f32_e32 v45, v37, v29
	v_rcp_f32_e32 v46, v45
	v_sub_f32_e32 v36, v37, v45
	v_add_f32_e32 v37, v38, v39
	v_add_f32_e32 v29, v29, v36
	v_mul_f32_e32 v48, v37, v46
	v_sub_f32_e32 v36, v38, v37
	v_mul_f32_e32 v38, v45, v48
	v_fma_f32 v40, v48, v45, -v38
	v_fmac_f32_e32 v40, v48, v29
	v_add_f32_e32 v47, v39, v36
	v_add_f32_e32 v36, v38, v40
	v_sub_f32_e32 v39, v37, v36
	v_pk_add_f32 v[42:43], v[36:37], v[38:39] neg_lo:[0,1] neg_hi:[0,1]
	v_mov_b32_e32 v41, v36
	v_pk_add_f32 v[36:37], v[42:43], v[40:41] neg_lo:[0,1] neg_hi:[0,1]
	v_cmp_neq_f32_e64 s[0:1], s22, v50
	v_add_f32_e32 v37, v47, v37
	v_add_f32_e32 v36, v36, v37
	;; [unrolled: 1-line block ×3, first 2 shown]
	v_mul_f32_e32 v47, v46, v37
	v_mul_f32_e32 v38, v45, v47
	v_fma_f32 v40, v47, v45, -v38
	v_fmac_f32_e32 v40, v47, v29
	v_sub_f32_e32 v29, v39, v37
	v_add_f32_e32 v29, v36, v29
	v_add_f32_e32 v36, v38, v40
	v_sub_f32_e32 v39, v37, v36
	v_pk_add_f32 v[42:43], v[36:37], v[38:39] neg_lo:[0,1] neg_hi:[0,1]
	v_mov_b32_e32 v41, v36
	v_pk_add_f32 v[36:37], v[42:43], v[40:41] neg_lo:[0,1] neg_hi:[0,1]
	s_nop 0
	v_add_f32_e32 v29, v29, v37
	v_add_f32_e32 v29, v36, v29
	;; [unrolled: 1-line block ×4, first 2 shown]
	v_sub_f32_e32 v36, v37, v48
	v_mul_f32_e32 v29, v46, v29
	v_sub_f32_e32 v36, v47, v36
	v_add_f32_e32 v38, v36, v29
	v_add_f32_e32 v40, v37, v38
	v_cvt_f32_i32_e32 v36, v44
	v_mul_f32_e32 v41, v40, v40
	v_sub_f32_e32 v37, v40, v37
	v_fmamk_f32 v29, v41, 0x3e9b6dac, v5
	v_sub_f32_e32 v37, v38, v37
	v_fmaak_f32 v29, v41, v29, 0x3f2aaada
	v_ldexp_f32 v42, v37, 1
	v_mul_f32_e32 v37, v40, v41
	v_ldexp_f32 v39, v40, 1
	v_pk_mul_f32 v[40:41], v[36:37], v[28:29]
	s_nop 0
	v_fma_f32 v38, v36, s24, -v40
	v_fmac_f32_e32 v38, 0xb102e308, v36
	v_pk_add_f32 v[36:37], v[40:41], v[38:39]
	s_nop 0
	v_sub_f32_e32 v29, v37, v39
	v_sub_f32_e32 v29, v41, v29
	v_add_f32_e32 v43, v42, v29
	v_mov_b32_e32 v42, v40
	v_pk_add_f32 v[40:41], v[36:37], v[40:41] neg_lo:[0,1] neg_hi:[0,1]
	v_pk_add_f32 v[44:45], v[36:37], v[42:43]
	v_mov_b32_e32 v39, v36
	v_mov_b32_e32 v41, v45
	v_pk_add_f32 v[46:47], v[38:39], v[40:41] neg_lo:[0,1] neg_hi:[0,1]
	v_pk_add_f32 v[38:39], v[38:39], v[40:41]
	v_mov_b32_e32 v42, v43
	v_pk_add_f32 v[40:41], v[38:39], v[36:37] op_sel:[1,0] op_sel_hi:[0,1] neg_lo:[0,1] neg_hi:[0,1]
	v_pk_add_f32 v[48:49], v[44:45], v[40:41] op_sel_hi:[1,0] neg_lo:[0,1] neg_hi:[0,1]
	v_mov_b32_e32 v44, v45
	v_mov_b32_e32 v45, v39
	v_pk_mov_b32 v[40:41], v[36:37], v[40:41] op_sel:[1,0]
	v_mov_b32_e32 v43, v36
	v_pk_add_f32 v[40:41], v[44:45], v[40:41] neg_lo:[0,1] neg_hi:[0,1]
	v_mov_b32_e32 v48, v46
	v_pk_add_f32 v[36:37], v[42:43], v[40:41] neg_lo:[0,1] neg_hi:[0,1]
	v_mov_b32_e32 v47, v39
	v_pk_add_f32 v[40:41], v[48:49], v[36:37]
	s_nop 0
	v_pk_add_f32 v[42:43], v[40:41], v[40:41] op_sel:[0,1] op_sel_hi:[1,0]
	s_nop 0
	v_pk_add_f32 v[38:39], v[38:39], v[42:43] op_sel:[1,0] op_sel_hi:[0,1]
	v_mov_b32_e32 v41, v38
	v_pk_add_f32 v[44:45], v[40:41], v[46:47] neg_lo:[0,1] neg_hi:[0,1]
	v_mov_b32_e32 v37, v42
	v_sub_f32_e32 v29, v40, v44
	v_pk_add_f32 v[36:37], v[36:37], v[44:45] neg_lo:[0,1] neg_hi:[0,1]
	v_sub_f32_e32 v29, v46, v29
	v_add_f32_e32 v29, v36, v29
	v_add_f32_e32 v29, v29, v37
	;; [unrolled: 1-line block ×3, first 2 shown]
	v_cndmask_b32_e64 v29, v35, v29, s[0:1]
	v_cmp_gt_f32_e64 s[0:1], s25, v50
	s_nop 1
	v_cndmask_b32_e64 v29, v29, v50, s[0:1]
.LBB1_16:                               ;   in Loop: Header=BB1_14 Depth=1
	s_or_b64 exec, exec, s[12:13]
	global_load_dword v46, v[18:19], off
	global_load_dword v47, v[14:15], off
	s_waitcnt lgkmcnt(0)
	v_lshl_add_u64 v[36:37], v[24:25], 0, v[22:23]
	global_load_dword v38, v[36:37], off
	global_load_dword v39, v[36:37], off offset:128
	global_load_dword v40, v[36:37], off offset:256
	;; [unrolled: 1-line block ×7, first 2 shown]
	v_lshl_add_u64 v[36:37], v[26:27], 0, v[22:23]
	global_load_dword v48, v[36:37], off
	global_load_dword v49, v[36:37], off offset:128
	global_load_dword v50, v[36:37], off offset:256
	;; [unrolled: 1-line block ×7, first 2 shown]
	s_waitcnt vmcnt(17)
	v_mul_f32_e32 v46, v29, v46
	s_waitcnt vmcnt(16)
	v_mul_f32_e32 v36, v29, v47
	v_mul_f32_e32 v29, 0x3fb8aa3b, v46
	s_waitcnt vmcnt(14)
	v_pk_mul_f32 v[38:39], v[36:37], v[38:39] op_sel_hi:[0,1]
	v_fma_f32 v37, v46, s15, -v29
	v_rndne_f32_e32 v47, v29
	v_fmac_f32_e32 v37, 0x32a5705f, v46
	v_sub_f32_e32 v29, v29, v47
	v_add_f32_e32 v29, v29, v37
	v_cvt_i32_f32_e32 v47, v47
	v_exp_f32_e32 v29, v29
	v_cmp_ngt_f32_e64 s[0:1], s16, v46
	s_waitcnt vmcnt(12)
	v_pk_mul_f32 v[40:41], v[36:37], v[40:41] op_sel_hi:[0,1]
	s_waitcnt vmcnt(10)
	v_pk_mul_f32 v[42:43], v[36:37], v[42:43] op_sel_hi:[0,1]
	v_ldexp_f32 v29, v29, v47
	v_cndmask_b32_e64 v29, 0, v29, s[0:1]
	v_cmp_nlt_f32_e64 s[0:1], s17, v46
	s_waitcnt vmcnt(8)
	v_pk_mul_f32 v[36:37], v[36:37], v[44:45] op_sel_hi:[0,1]
	v_cndmask_b32_e64 v44, v35, v29, s[0:1]
	v_pk_fma_f32 v[12:13], v[44:45], v[12:13], v[38:39] op_sel_hi:[0,1,1]
	s_waitcnt vmcnt(7)
	v_fma_f32 v29, v48, v12, 0
	v_pk_fma_f32 v[10:11], v[44:45], v[10:11], v[40:41] op_sel_hi:[0,1,1]
	s_waitcnt vmcnt(6)
	v_fmac_f32_e32 v29, v49, v13
	s_waitcnt vmcnt(5)
	v_fmac_f32_e32 v29, v50, v10
	v_pk_fma_f32 v[8:9], v[44:45], v[8:9], v[42:43] op_sel_hi:[0,1,1]
	s_waitcnt vmcnt(4)
	v_fmac_f32_e32 v29, v51, v11
	s_waitcnt vmcnt(3)
	v_fmac_f32_e32 v29, v52, v8
	;; [unrolled: 2-line block ×3, first 2 shown]
	v_pk_fma_f32 v[6:7], v[44:45], v[6:7], v[36:37] op_sel_hi:[0,1,1]
	s_waitcnt vmcnt(1)
	v_fmac_f32_e32 v29, v54, v6
	s_waitcnt vmcnt(0)
	v_fmac_f32_e32 v29, v55, v7
	ds_bpermute_b32 v36, v30, v29
	s_waitcnt lgkmcnt(0)
	v_add_f32_e32 v29, v29, v36
	ds_bpermute_b32 v36, v31, v29
	s_waitcnt lgkmcnt(0)
	v_add_f32_e32 v29, v29, v36
	;; [unrolled: 3-line block ×4, first 2 shown]
	ds_bpermute_b32 v36, v34, v29
	s_and_saveexec_b64 s[0:1], vcc
	s_cbranch_execz .LBB1_13
; %bb.17:                               ;   in Loop: Header=BB1_14 Depth=1
	s_waitcnt lgkmcnt(0)
	v_add_f32_e32 v29, v29, v36
	global_store_dword v[20:21], v29, off
	s_branch .LBB1_13
.LBB1_18:
	s_add_u32 s0, s18, s20
	s_mul_i32 s2, s37, s34
	s_addc_u32 s1, s19, s21
	s_ashr_i32 s3, s2, 31
	s_add_u32 s0, s0, s2
	s_addc_u32 s1, s1, s3
	v_lshl_add_u64 v[0:1], s[0:1], 0, v[0:1]
	v_lshl_add_u64 v[0:1], v[0:1], 0, v[2:3]
	v_mov_b32_e32 v5, 0
	v_lshl_add_u64 v[0:1], v[0:1], 0, v[4:5]
	s_waitcnt vmcnt(7)
	global_store_dword v[0:1], v12, off
	s_waitcnt vmcnt(7)
	global_store_dword v[0:1], v13, off offset:128
	s_waitcnt vmcnt(7)
	global_store_dword v[0:1], v10, off offset:256
	;; [unrolled: 2-line block ×7, first 2 shown]
	s_endpgm
.LBB1_19:
                                        ; implicit-def: $sgpr2_sgpr3
	s_load_dwordx4 s[28:31], s[0:1], 0x60
	s_branch .LBB1_7
	.section	.rodata,"a",@progbits
	.p2align	6, 0x0
	.amdhsa_kernel _Z18ssm_scan_f32_groupILi8ELi256EEvPKfS1_S1_S1_S1_S1_PKiPfiiiiiiiiiiilllll
		.amdhsa_group_segment_fixed_size 0
		.amdhsa_private_segment_fixed_size 0
		.amdhsa_kernarg_size 152
		.amdhsa_user_sgpr_count 2
		.amdhsa_user_sgpr_dispatch_ptr 0
		.amdhsa_user_sgpr_queue_ptr 0
		.amdhsa_user_sgpr_kernarg_segment_ptr 1
		.amdhsa_user_sgpr_dispatch_id 0
		.amdhsa_user_sgpr_kernarg_preload_length 0
		.amdhsa_user_sgpr_kernarg_preload_offset 0
		.amdhsa_user_sgpr_private_segment_size 0
		.amdhsa_uses_dynamic_stack 0
		.amdhsa_enable_private_segment 0
		.amdhsa_system_sgpr_workgroup_id_x 1
		.amdhsa_system_sgpr_workgroup_id_y 1
		.amdhsa_system_sgpr_workgroup_id_z 0
		.amdhsa_system_sgpr_workgroup_info 0
		.amdhsa_system_vgpr_workitem_id 0
		.amdhsa_next_free_vgpr 56
		.amdhsa_next_free_sgpr 53
		.amdhsa_accum_offset 56
		.amdhsa_reserve_vcc 1
		.amdhsa_float_round_mode_32 0
		.amdhsa_float_round_mode_16_64 0
		.amdhsa_float_denorm_mode_32 3
		.amdhsa_float_denorm_mode_16_64 3
		.amdhsa_dx10_clamp 1
		.amdhsa_ieee_mode 1
		.amdhsa_fp16_overflow 0
		.amdhsa_tg_split 0
		.amdhsa_exception_fp_ieee_invalid_op 0
		.amdhsa_exception_fp_denorm_src 0
		.amdhsa_exception_fp_ieee_div_zero 0
		.amdhsa_exception_fp_ieee_overflow 0
		.amdhsa_exception_fp_ieee_underflow 0
		.amdhsa_exception_fp_ieee_inexact 0
		.amdhsa_exception_int_div_zero 0
	.end_amdhsa_kernel
	.section	.text._Z18ssm_scan_f32_groupILi8ELi256EEvPKfS1_S1_S1_S1_S1_PKiPfiiiiiiiiiiilllll,"axG",@progbits,_Z18ssm_scan_f32_groupILi8ELi256EEvPKfS1_S1_S1_S1_S1_PKiPfiiiiiiiiiiilllll,comdat
.Lfunc_end1:
	.size	_Z18ssm_scan_f32_groupILi8ELi256EEvPKfS1_S1_S1_S1_S1_PKiPfiiiiiiiiiiilllll, .Lfunc_end1-_Z18ssm_scan_f32_groupILi8ELi256EEvPKfS1_S1_S1_S1_S1_PKiPfiiiiiiiiiiilllll
                                        ; -- End function
	.set _Z18ssm_scan_f32_groupILi8ELi256EEvPKfS1_S1_S1_S1_S1_PKiPfiiiiiiiiiiilllll.num_vgpr, 56
	.set _Z18ssm_scan_f32_groupILi8ELi256EEvPKfS1_S1_S1_S1_S1_PKiPfiiiiiiiiiiilllll.num_agpr, 0
	.set _Z18ssm_scan_f32_groupILi8ELi256EEvPKfS1_S1_S1_S1_S1_PKiPfiiiiiiiiiiilllll.numbered_sgpr, 53
	.set _Z18ssm_scan_f32_groupILi8ELi256EEvPKfS1_S1_S1_S1_S1_PKiPfiiiiiiiiiiilllll.num_named_barrier, 0
	.set _Z18ssm_scan_f32_groupILi8ELi256EEvPKfS1_S1_S1_S1_S1_PKiPfiiiiiiiiiiilllll.private_seg_size, 0
	.set _Z18ssm_scan_f32_groupILi8ELi256EEvPKfS1_S1_S1_S1_S1_PKiPfiiiiiiiiiiilllll.uses_vcc, 1
	.set _Z18ssm_scan_f32_groupILi8ELi256EEvPKfS1_S1_S1_S1_S1_PKiPfiiiiiiiiiiilllll.uses_flat_scratch, 0
	.set _Z18ssm_scan_f32_groupILi8ELi256EEvPKfS1_S1_S1_S1_S1_PKiPfiiiiiiiiiiilllll.has_dyn_sized_stack, 0
	.set _Z18ssm_scan_f32_groupILi8ELi256EEvPKfS1_S1_S1_S1_S1_PKiPfiiiiiiiiiiilllll.has_recursion, 0
	.set _Z18ssm_scan_f32_groupILi8ELi256EEvPKfS1_S1_S1_S1_S1_PKiPfiiiiiiiiiiilllll.has_indirect_call, 0
	.section	.AMDGPU.csdata,"",@progbits
; Kernel info:
; codeLenInByte = 4416
; TotalNumSgprs: 59
; NumVgprs: 56
; NumAgprs: 0
; TotalNumVgprs: 56
; ScratchSize: 0
; MemoryBound: 0
; FloatMode: 240
; IeeeMode: 1
; LDSByteSize: 0 bytes/workgroup (compile time only)
; SGPRBlocks: 7
; VGPRBlocks: 6
; NumSGPRsForWavesPerEU: 59
; NumVGPRsForWavesPerEU: 56
; AccumOffset: 56
; Occupancy: 8
; WaveLimiterHint : 1
; COMPUTE_PGM_RSRC2:SCRATCH_EN: 0
; COMPUTE_PGM_RSRC2:USER_SGPR: 2
; COMPUTE_PGM_RSRC2:TRAP_HANDLER: 0
; COMPUTE_PGM_RSRC2:TGID_X_EN: 1
; COMPUTE_PGM_RSRC2:TGID_Y_EN: 1
; COMPUTE_PGM_RSRC2:TGID_Z_EN: 0
; COMPUTE_PGM_RSRC2:TIDIG_COMP_CNT: 0
; COMPUTE_PGM_RSRC3_GFX90A:ACCUM_OFFSET: 13
; COMPUTE_PGM_RSRC3_GFX90A:TG_SPLIT: 0
	.section	.text._Z12ssm_scan_f32ILm128ELm16ELm1EEvPKfS1_S1_S1_S1_S1_PKiPfiiiiiiiiiiilll,"axG",@progbits,_Z12ssm_scan_f32ILm128ELm16ELm1EEvPKfS1_S1_S1_S1_S1_PKiPfiiiiiiiiiiilll,comdat
	.protected	_Z12ssm_scan_f32ILm128ELm16ELm1EEvPKfS1_S1_S1_S1_S1_PKiPfiiiiiiiiiiilll ; -- Begin function _Z12ssm_scan_f32ILm128ELm16ELm1EEvPKfS1_S1_S1_S1_S1_PKiPfiiiiiiiiiiilll
	.globl	_Z12ssm_scan_f32ILm128ELm16ELm1EEvPKfS1_S1_S1_S1_S1_PKiPfiiiiiiiiiiilll
	.p2align	8
	.type	_Z12ssm_scan_f32ILm128ELm16ELm1EEvPKfS1_S1_S1_S1_S1_PKiPfiiiiiiiiiiilll,@function
_Z12ssm_scan_f32ILm128ELm16ELm1EEvPKfS1_S1_S1_S1_S1_PKiPfiiiiiiiiiiilll: ; @_Z12ssm_scan_f32ILm128ELm16ELm1EEvPKfS1_S1_S1_S1_S1_PKiPfiiiiiiiiiiilll
; %bb.0:
	s_load_dwordx16 s[4:19], s[0:1], 0x0
	s_mov_b32 s20, s3
	s_mov_b32 s3, 0
	s_lshl_b64 s[22:23], s[2:3], 2
	v_mov_b32_e32 v35, 0
	s_waitcnt lgkmcnt(0)
	s_add_u32 s24, s16, s22
	s_addc_u32 s25, s17, s23
	s_load_dword s21, s[24:25], 0x0
	s_load_dwordx2 s[16:17], s[0:1], 0x40
	s_load_dwordx2 s[22:23], s[0:1], 0x54
	v_cmp_gt_u32_e32 vcc, 16, v0
	v_lshlrev_b32_e32 v1, 2, v0
	s_waitcnt lgkmcnt(0)
	s_mul_i32 s21, s21, s17
	s_ashr_i32 s24, s21, 31
	s_add_u32 s4, s4, s21
	s_addc_u32 s5, s5, s24
	s_lshl_b32 s21, s20, 7
	s_ashr_i32 s24, s16, 31
	s_mul_i32 s24, s21, s24
	s_mul_hi_u32 s25, s21, s16
	s_lshr_b32 s26, s20, 25
	s_add_i32 s24, s25, s24
	s_mul_i32 s25, s26, s16
	s_add_i32 s24, s24, s25
	s_mul_i32 s25, s21, s16
	s_add_u32 s4, s4, s25
	s_addc_u32 s5, s5, s24
	s_ashr_i32 s27, s23, 31
	s_mul_i32 s27, s21, s27
	s_mul_hi_u32 s28, s21, s23
	s_add_i32 s27, s28, s27
	s_mul_i32 s26, s26, s23
	s_add_i32 s27, s27, s26
	s_mul_i32 s21, s21, s23
	s_add_u32 s10, s10, s21
	s_addc_u32 s11, s11, s27
	s_ashr_i32 s21, s23, 2
	s_ashr_i32 s16, s16, 2
	v_mul_lo_u32 v34, s21, v0
	v_lshl_add_u64 v[36:37], v[34:35], 2, s[10:11]
	v_mul_lo_u32 v34, s16, v0
	v_lshl_add_u64 v[38:39], v[34:35], 2, s[4:5]
	global_load_dwordx4 v[14:17], v[36:37], off offset:48
	global_load_dwordx4 v[22:25], v[36:37], off offset:32
	;; [unrolled: 1-line block ×3, first 2 shown]
	global_load_dwordx4 v[30:33], v[36:37], off
	global_load_dwordx4 v[2:5], v[38:39], off offset:48
	global_load_dwordx4 v[6:9], v[38:39], off offset:32
	;; [unrolled: 1-line block ×3, first 2 shown]
	global_load_dwordx4 v[18:21], v[38:39], off
	s_mov_b32 s21, s3
	s_and_saveexec_b64 s[4:5], vcc
	s_cbranch_execz .LBB2_2
; %bb.1:
	s_load_dword s3, s[0:1], 0x68
	s_load_dword s10, s[0:1], 0x60
	s_waitcnt lgkmcnt(0)
	s_mul_i32 s3, s3, s2
	s_mul_i32 s16, s10, s2
	s_add_u32 s10, s14, s3
	s_addc_u32 s11, s15, 0
	s_add_u32 s12, s12, s16
	s_addc_u32 s13, s13, 0
	global_load_dword v0, v1, s[12:13]
	global_load_dword v36, v1, s[10:11]
	s_waitcnt vmcnt(0)
	ds_write2_b32 v1, v0, v36 offset1:16
.LBB2_2:
	s_or_b64 exec, exec, s[4:5]
	s_lshl_b64 s[4:5], s[20:21], 9
	s_mul_i32 s3, s22, s2
	s_add_u32 s3, s8, s3
	s_addc_u32 s9, s9, 0
	s_add_u32 s8, s3, s4
	s_addc_u32 s9, s9, s5
	s_waitcnt lgkmcnt(0)
	s_barrier
	global_load_dword v36, v1, s[8:9]
	s_mov_b32 s3, 0x41a00000
	s_waitcnt vmcnt(0)
	v_cmp_ge_f32_e32 vcc, s3, v36
	s_and_saveexec_b64 s[8:9], vcc
	s_cbranch_execz .LBB2_4
; %bb.3:
	v_mul_f32_e32 v0, 0x3fb8aa3b, v36
	s_mov_b32 s3, 0x3fb8aa3b
	v_rndne_f32_e32 v37, v0
	v_sub_f32_e32 v38, v0, v37
	v_fma_f32 v0, v36, s3, -v0
	v_fmamk_f32 v0, v36, 0x32a5705f, v0
	v_add_f32_e32 v0, v38, v0
	v_exp_f32_e32 v0, v0
	v_cvt_i32_f32_e32 v37, v37
	s_mov_b32 s3, 0xc2ce8ed0
	v_cmp_ngt_f32_e32 vcc, s3, v36
	s_mov_b32 s3, 0x42b17218
	v_ldexp_f32 v0, v0, v37
	v_cndmask_b32_e32 v0, 0, v0, vcc
	v_mov_b32_e32 v50, 0x7f800000
	v_cmp_nlt_f32_e32 vcc, s3, v36
	s_mov_b32 s3, 0x3f2aaaab
	s_mov_b32 s10, 0x7f800000
	v_cndmask_b32_e32 v0, v50, v0, vcc
	v_add_f32_e32 v38, 1.0, v0
	v_add_f32_e32 v36, -1.0, v38
	v_sub_f32_e32 v37, v36, v38
	v_add_f32_e32 v37, 1.0, v37
	v_sub_f32_e32 v36, v0, v36
	v_add_f32_e32 v39, v36, v37
	v_frexp_mant_f32_e32 v40, v38
	v_cvt_f64_f32_e32 v[36:37], v38
	v_frexp_exp_i32_f64_e32 v36, v[36:37]
	v_cmp_gt_f32_e32 vcc, s3, v40
	s_mov_b32 s3, 0x3f317218
	s_nop 0
	v_subbrev_co_u32_e32 v44, vcc, 0, v36, vcc
	v_sub_u32_e32 v36, 0, v44
	v_ldexp_f32 v37, v38, v36
	v_add_f32_e32 v38, -1.0, v37
	v_add_f32_e32 v40, 1.0, v37
	v_ldexp_f32 v36, v39, v36
	v_add_f32_e32 v39, 1.0, v38
	v_add_f32_e32 v41, -1.0, v40
	v_sub_f32_e32 v39, v37, v39
	v_sub_f32_e32 v37, v37, v41
	v_add_f32_e32 v39, v36, v39
	v_add_f32_e32 v36, v36, v37
	;; [unrolled: 1-line block ×3, first 2 shown]
	v_rcp_f32_e32 v47, v45
	v_sub_f32_e32 v37, v40, v45
	v_add_f32_e32 v46, v36, v37
	v_add_f32_e32 v37, v38, v39
	v_mul_f32_e32 v49, v37, v47
	v_sub_f32_e32 v36, v38, v37
	v_mul_f32_e32 v38, v45, v49
	v_fma_f32 v40, v49, v45, -v38
	v_fmac_f32_e32 v40, v49, v46
	v_add_f32_e32 v48, v39, v36
	v_add_f32_e32 v36, v38, v40
	v_sub_f32_e32 v39, v37, v36
	v_pk_add_f32 v[42:43], v[36:37], v[38:39] neg_lo:[0,1] neg_hi:[0,1]
	v_mov_b32_e32 v41, v36
	v_pk_add_f32 v[36:37], v[42:43], v[40:41] neg_lo:[0,1] neg_hi:[0,1]
	v_cmp_neq_f32_e32 vcc, s10, v0
	v_add_f32_e32 v37, v48, v37
	v_add_f32_e32 v36, v36, v37
	;; [unrolled: 1-line block ×3, first 2 shown]
	v_mul_f32_e32 v48, v47, v37
	v_mul_f32_e32 v38, v45, v48
	v_fma_f32 v40, v48, v45, -v38
	v_fmac_f32_e32 v40, v48, v46
	v_sub_f32_e32 v39, v39, v37
	v_add_f32_e32 v45, v36, v39
	v_add_f32_e32 v36, v38, v40
	v_sub_f32_e32 v39, v37, v36
	v_pk_add_f32 v[42:43], v[36:37], v[38:39] neg_lo:[0,1] neg_hi:[0,1]
	v_mov_b32_e32 v41, v36
	v_pk_add_f32 v[36:37], v[42:43], v[40:41] neg_lo:[0,1] neg_hi:[0,1]
	v_cvt_f32_i32_e32 v38, v44
	v_add_f32_e32 v37, v45, v37
	v_add_f32_e32 v36, v36, v37
	;; [unrolled: 1-line block ×4, first 2 shown]
	v_sub_f32_e32 v37, v39, v49
	v_mul_f32_e32 v36, v47, v36
	v_sub_f32_e32 v37, v48, v37
	v_add_f32_e32 v36, v37, v36
	v_add_f32_e32 v40, v39, v36
	v_mul_f32_e32 v42, v40, v40
	v_mov_b32_e32 v37, 0x3ecc95a3
	v_sub_f32_e32 v39, v40, v39
	v_fmac_f32_e32 v37, 0x3e9b6dac, v42
	v_sub_f32_e32 v36, v36, v39
	v_fmaak_f32 v37, v42, v37, 0x3f2aaada
	v_ldexp_f32 v43, v36, 1
	v_mul_f32_e32 v39, v40, v42
	v_mov_b32_e32 v36, 0x3f317218
	v_pk_mul_f32 v[36:37], v[38:39], v[36:37]
	v_ldexp_f32 v41, v40, 1
	v_fma_f32 v39, v38, s3, -v36
	v_fmamk_f32 v40, v38, 0xb102e308, v39
	v_pk_add_f32 v[38:39], v[36:37], v[40:41]
	v_mov_b32_e32 v42, v36
	v_sub_f32_e32 v41, v39, v41
	v_sub_f32_e32 v41, v37, v41
	v_add_f32_e32 v43, v43, v41
	v_pk_add_f32 v[36:37], v[38:39], v[36:37] neg_lo:[0,1] neg_hi:[0,1]
	v_pk_add_f32 v[44:45], v[38:39], v[42:43]
	v_mov_b32_e32 v41, v38
	v_mov_b32_e32 v37, v45
	v_pk_add_f32 v[46:47], v[40:41], v[36:37] neg_lo:[0,1] neg_hi:[0,1]
	v_pk_add_f32 v[36:37], v[40:41], v[36:37]
	v_mov_b32_e32 v42, v43
	v_pk_add_f32 v[40:41], v[36:37], v[38:39] op_sel:[1,0] op_sel_hi:[0,1] neg_lo:[0,1] neg_hi:[0,1]
	v_pk_add_f32 v[48:49], v[44:45], v[40:41] op_sel_hi:[1,0] neg_lo:[0,1] neg_hi:[0,1]
	v_mov_b32_e32 v44, v45
	v_mov_b32_e32 v45, v37
	v_pk_mov_b32 v[40:41], v[38:39], v[40:41] op_sel:[1,0]
	v_mov_b32_e32 v43, v38
	v_pk_add_f32 v[40:41], v[44:45], v[40:41] neg_lo:[0,1] neg_hi:[0,1]
	v_mov_b32_e32 v48, v46
	v_pk_add_f32 v[38:39], v[42:43], v[40:41] neg_lo:[0,1] neg_hi:[0,1]
	v_mov_b32_e32 v47, v37
	v_pk_add_f32 v[40:41], v[48:49], v[38:39]
	s_mov_b32 s3, 0x33800000
	v_pk_add_f32 v[42:43], v[40:41], v[40:41] op_sel:[0,1] op_sel_hi:[1,0]
	s_nop 0
	v_pk_add_f32 v[36:37], v[36:37], v[42:43] op_sel:[1,0] op_sel_hi:[0,1]
	v_mov_b32_e32 v41, v36
	v_pk_add_f32 v[44:45], v[40:41], v[46:47] neg_lo:[0,1] neg_hi:[0,1]
	v_mov_b32_e32 v39, v42
	v_sub_f32_e32 v37, v40, v44
	v_pk_add_f32 v[38:39], v[38:39], v[44:45] neg_lo:[0,1] neg_hi:[0,1]
	v_sub_f32_e32 v37, v46, v37
	v_add_f32_e32 v37, v38, v37
	v_add_f32_e32 v37, v37, v39
	;; [unrolled: 1-line block ×3, first 2 shown]
	v_cndmask_b32_e32 v36, v50, v36, vcc
	v_cmp_gt_f32_e32 vcc, s3, v0
	s_nop 1
	v_cndmask_b32_e32 v36, v36, v0, vcc
.LBB2_4:
	s_or_b64 exec, exec, s[8:9]
	s_load_dwordx4 s[8:11], s[0:1], 0x70
	s_load_dword s3, s[0:1], 0x4c
	v_mul_f32_e32 v30, v36, v30
	v_mul_f32_e32 v31, v36, v31
	;; [unrolled: 1-line block ×3, first 2 shown]
	s_waitcnt lgkmcnt(0)
	s_mul_i32 s1, s2, s11
	s_mul_hi_u32 s11, s2, s10
	s_mul_i32 s0, s2, s10
	s_add_i32 s1, s11, s1
	s_lshl_b64 s[0:1], s[0:1], 2
	s_add_u32 s0, s18, s0
	s_addc_u32 s1, s19, s1
	s_add_u32 s0, s0, s4
	s_mul_i32 s3, s3, s2
	s_addc_u32 s1, s1, s5
	s_add_u32 s3, s6, s3
	s_addc_u32 s6, s7, 0
	s_add_u32 s4, s3, s4
	s_addc_u32 s5, s6, s5
	global_load_dword v0, v1, s[4:5]
	s_mov_b32 s5, 0x3fb8aa3b
	v_mul_f32_e32 v32, v36, v32
	v_mul_f32_e32 v39, 0x3fb8aa3b, v31
	v_fma_f32 v43, v30, s5, -v38
	v_rndne_f32_e32 v44, v38
	v_mul_f32_e32 v33, v36, v33
	v_mul_f32_e32 v40, 0x3fb8aa3b, v32
	v_fma_f32 v45, v31, s5, -v39
	v_rndne_f32_e32 v46, v39
	v_fmac_f32_e32 v43, 0x32a5705f, v30
	v_sub_f32_e32 v38, v38, v44
	v_mul_f32_e32 v41, 0x3fb8aa3b, v33
	v_fma_f32 v47, v32, s5, -v40
	v_rndne_f32_e32 v48, v40
	v_fmac_f32_e32 v45, 0x32a5705f, v31
	v_sub_f32_e32 v39, v39, v46
	v_add_f32_e32 v38, v38, v43
	v_fma_f32 v49, v33, s5, -v41
	v_rndne_f32_e32 v50, v41
	v_cvt_i32_f32_e32 v44, v44
	v_fmac_f32_e32 v47, 0x32a5705f, v32
	v_sub_f32_e32 v40, v40, v48
	v_add_f32_e32 v39, v39, v45
	v_exp_f32_e32 v38, v38
	v_cvt_i32_f32_e32 v46, v46
	v_fmac_f32_e32 v49, 0x32a5705f, v33
	v_sub_f32_e32 v41, v41, v50
	v_add_f32_e32 v40, v40, v47
	v_exp_f32_e32 v39, v39
	v_cvt_i32_f32_e32 v48, v48
	v_add_f32_e32 v41, v41, v49
	v_exp_f32_e32 v40, v40
	s_mov_b32 s4, 0xc2ce8ed0
	v_cvt_i32_f32_e32 v50, v50
	v_exp_f32_e32 v41, v41
	v_ldexp_f32 v38, v38, v44
	v_cmp_ngt_f32_e32 vcc, s4, v30
	v_ldexp_f32 v39, v39, v46
	v_ldexp_f32 v40, v40, v48
	v_cndmask_b32_e32 v38, 0, v38, vcc
	v_cmp_ngt_f32_e32 vcc, s4, v31
	s_mov_b32 s6, 0x42b17218
	v_mul_f32_e32 v26, v36, v26
	v_cndmask_b32_e32 v39, 0, v39, vcc
	v_cmp_ngt_f32_e32 vcc, s4, v32
	v_ldexp_f32 v41, v41, v50
	v_mov_b32_e32 v37, 0x7f800000
	v_cndmask_b32_e32 v40, 0, v40, vcc
	v_cmp_ngt_f32_e32 vcc, s4, v33
	v_mul_f32_e32 v27, v36, v27
	v_mul_f32_e32 v42, 0x3fb8aa3b, v26
	v_cndmask_b32_e32 v41, 0, v41, vcc
	v_cmp_nlt_f32_e32 vcc, s6, v30
	v_fma_f32 v51, v26, s5, -v42
	v_rndne_f32_e32 v52, v42
	v_cndmask_b32_e32 v38, v37, v38, vcc
	v_cmp_nlt_f32_e32 vcc, s6, v31
	v_mul_f32_e32 v30, 0x3fb8aa3b, v27
	v_fmac_f32_e32 v51, 0x32a5705f, v26
	v_sub_f32_e32 v42, v42, v52
	v_cndmask_b32_e32 v39, v37, v39, vcc
	v_cmp_nlt_f32_e32 vcc, s6, v32
	v_fma_f32 v31, v27, s5, -v30
	v_rndne_f32_e32 v32, v30
	v_add_f32_e32 v42, v42, v51
	v_fmac_f32_e32 v31, 0x32a5705f, v27
	v_sub_f32_e32 v30, v30, v32
	v_cvt_i32_f32_e32 v52, v52
	v_exp_f32_e32 v42, v42
	v_add_f32_e32 v30, v30, v31
	v_exp_f32_e32 v30, v30
	v_cvt_i32_f32_e32 v31, v32
	v_cndmask_b32_e32 v40, v37, v40, vcc
	v_cmp_nlt_f32_e32 vcc, s6, v33
	v_ldexp_f32 v42, v42, v52
	v_mul_f32_e32 v28, v36, v28
	v_cndmask_b32_e32 v41, v37, v41, vcc
	v_cmp_ngt_f32_e32 vcc, s4, v26
	v_mul_f32_e32 v22, v36, v22
	v_mul_f32_e32 v23, v36, v23
	v_cndmask_b32_e32 v32, 0, v42, vcc
	v_cmp_nlt_f32_e32 vcc, s6, v26
	v_ldexp_f32 v26, v30, v31
	v_mul_f32_e32 v30, 0x3fb8aa3b, v28
	v_cndmask_b32_e32 v46, v37, v32, vcc
	v_fma_f32 v31, v28, s5, -v30
	v_rndne_f32_e32 v32, v30
	v_fmac_f32_e32 v31, 0x32a5705f, v28
	v_sub_f32_e32 v30, v30, v32
	v_add_f32_e32 v30, v30, v31
	v_exp_f32_e32 v30, v30
	v_cvt_i32_f32_e32 v31, v32
	v_cmp_ngt_f32_e32 vcc, s4, v27
	v_mul_f32_e32 v24, v36, v24
	v_mul_f32_e32 v14, v36, v14
	v_cndmask_b32_e32 v26, 0, v26, vcc
	v_cmp_nlt_f32_e32 vcc, s6, v27
	v_mul_f32_e32 v27, v36, v29
	v_mul_f32_e32 v29, 0x3fb8aa3b, v27
	v_cndmask_b32_e32 v47, v37, v26, vcc
	v_ldexp_f32 v26, v30, v31
	v_fma_f32 v30, v27, s5, -v29
	v_rndne_f32_e32 v31, v29
	v_fmac_f32_e32 v30, 0x32a5705f, v27
	v_sub_f32_e32 v29, v29, v31
	v_add_f32_e32 v29, v29, v30
	v_exp_f32_e32 v29, v29
	v_cvt_i32_f32_e32 v30, v31
	v_cmp_ngt_f32_e32 vcc, s4, v28
	v_mul_f32_e32 v15, v36, v15
	v_mul_f32_e32 v16, v36, v16
	v_cndmask_b32_e32 v26, 0, v26, vcc
	v_cmp_nlt_f32_e32 vcc, s6, v28
	v_mul_f32_e32 v28, 0x3fb8aa3b, v22
	v_mov_b32_e32 v56, 0
	v_cndmask_b32_e32 v48, v37, v26, vcc
	v_ldexp_f32 v26, v29, v30
	v_fma_f32 v29, v22, s5, -v28
	v_rndne_f32_e32 v30, v28
	v_fmac_f32_e32 v29, 0x32a5705f, v22
	v_sub_f32_e32 v28, v28, v30
	v_add_f32_e32 v28, v28, v29
	v_exp_f32_e32 v28, v28
	v_cvt_i32_f32_e32 v29, v30
	v_cmp_ngt_f32_e32 vcc, s4, v27
	s_waitcnt vmcnt(0)
	v_mul_f32_e32 v0, v36, v0
	s_add_u32 s3, s18, s8
	v_cndmask_b32_e32 v26, 0, v26, vcc
	v_cmp_nlt_f32_e32 vcc, s6, v27
	v_mul_f32_e32 v27, 0x3fb8aa3b, v23
	s_mul_i32 s2, s17, s2
	v_cndmask_b32_e32 v49, v37, v26, vcc
	v_ldexp_f32 v26, v28, v29
	v_fma_f32 v28, v23, s5, -v27
	v_rndne_f32_e32 v29, v27
	v_fmac_f32_e32 v28, 0x32a5705f, v23
	v_sub_f32_e32 v27, v27, v29
	v_add_f32_e32 v27, v27, v28
	v_exp_f32_e32 v27, v27
	v_cvt_i32_f32_e32 v28, v29
	v_cmp_ngt_f32_e32 vcc, s4, v22
	s_addc_u32 s7, s19, s9
	s_add_u32 s2, s3, s2
	v_cndmask_b32_e32 v26, 0, v26, vcc
	v_cmp_nlt_f32_e32 vcc, s6, v22
	v_ldexp_f32 v22, v27, v28
	s_addc_u32 s3, s7, 0
	v_cndmask_b32_e32 v50, v37, v26, vcc
	v_mul_f32_e32 v26, 0x3fb8aa3b, v24
	v_fma_f32 v27, v24, s5, -v26
	v_rndne_f32_e32 v28, v26
	v_fmac_f32_e32 v27, 0x32a5705f, v24
	v_sub_f32_e32 v26, v26, v28
	v_add_f32_e32 v26, v26, v27
	v_exp_f32_e32 v26, v26
	v_cvt_i32_f32_e32 v27, v28
	v_cmp_ngt_f32_e32 vcc, s4, v23
	s_add_u32 s2, s2, s25
	s_addc_u32 s3, s3, s24
	v_cndmask_b32_e32 v22, 0, v22, vcc
	v_cmp_nlt_f32_e32 vcc, s6, v23
	v_mul_f32_e32 v23, v36, v25
	v_mul_f32_e32 v25, 0x3fb8aa3b, v23
	v_cndmask_b32_e32 v51, v37, v22, vcc
	v_ldexp_f32 v22, v26, v27
	v_fma_f32 v26, v23, s5, -v25
	v_rndne_f32_e32 v27, v25
	v_fmac_f32_e32 v26, 0x32a5705f, v23
	v_sub_f32_e32 v25, v25, v27
	v_add_f32_e32 v25, v25, v26
	v_exp_f32_e32 v25, v25
	v_cvt_i32_f32_e32 v26, v27
	v_cmp_ngt_f32_e32 vcc, s4, v24
	v_lshl_add_u64 v[34:35], v[34:35], 2, s[2:3]
	s_nop 0
	v_cndmask_b32_e32 v22, 0, v22, vcc
	v_cmp_nlt_f32_e32 vcc, s6, v24
	v_mul_f32_e32 v24, 0x3fb8aa3b, v14
	s_nop 0
	v_cndmask_b32_e32 v52, v37, v22, vcc
	v_ldexp_f32 v22, v25, v26
	v_fma_f32 v25, v14, s5, -v24
	v_rndne_f32_e32 v26, v24
	v_fmac_f32_e32 v25, 0x32a5705f, v14
	v_sub_f32_e32 v24, v24, v26
	v_add_f32_e32 v24, v24, v25
	v_exp_f32_e32 v24, v24
	v_cvt_i32_f32_e32 v25, v26
	v_cmp_ngt_f32_e32 vcc, s4, v23
	s_nop 1
	v_cndmask_b32_e32 v22, 0, v22, vcc
	v_cmp_nlt_f32_e32 vcc, s6, v23
	v_mul_f32_e32 v23, 0x3fb8aa3b, v15
	s_nop 0
	v_cndmask_b32_e32 v53, v37, v22, vcc
	v_ldexp_f32 v22, v24, v25
	v_fma_f32 v24, v15, s5, -v23
	v_rndne_f32_e32 v25, v23
	v_fmac_f32_e32 v24, 0x32a5705f, v15
	v_sub_f32_e32 v23, v23, v25
	v_add_f32_e32 v23, v23, v24
	v_exp_f32_e32 v23, v23
	v_cvt_i32_f32_e32 v24, v25
	v_cmp_ngt_f32_e32 vcc, s4, v14
	s_nop 1
	v_cndmask_b32_e32 v22, 0, v22, vcc
	v_cmp_nlt_f32_e32 vcc, s6, v14
	v_ldexp_f32 v14, v23, v24
	s_nop 0
	v_cndmask_b32_e32 v54, v37, v22, vcc
	v_mul_f32_e32 v22, 0x3fb8aa3b, v16
	v_fma_f32 v23, v16, s5, -v22
	v_rndne_f32_e32 v24, v22
	v_fmac_f32_e32 v23, 0x32a5705f, v16
	v_sub_f32_e32 v22, v22, v24
	v_add_f32_e32 v22, v22, v23
	v_exp_f32_e32 v26, v22
	v_cvt_i32_f32_e32 v27, v24
	ds_read_b128 v[22:25], v56
	v_cmp_ngt_f32_e32 vcc, s4, v15
	v_ldexp_f32 v57, v26, v27
	s_nop 0
	v_cndmask_b32_e32 v14, 0, v14, vcc
	v_cmp_nlt_f32_e32 vcc, s6, v15
	ds_read_b128 v[26:29], v56 offset:16
	s_waitcnt lgkmcnt(1)
	v_pk_mul_f32 v[42:43], v[0:1], v[24:25] op_sel_hi:[0,1]
	v_cndmask_b32_e32 v55, v37, v14, vcc
	v_pk_mul_f32 v[14:15], v[0:1], v[22:23] op_sel_hi:[0,1]
	v_pk_fma_f32 v[18:19], v[18:19], v[38:39], v[14:15]
	v_mul_f32_e32 v14, v36, v17
	v_mul_f32_e32 v15, 0x3fb8aa3b, v14
	v_fma_f32 v17, v14, s5, -v15
	v_rndne_f32_e32 v36, v15
	v_fmac_f32_e32 v17, 0x32a5705f, v14
	v_sub_f32_e32 v15, v15, v36
	ds_read_b128 v[22:25], v56 offset:64
	ds_read_b128 v[30:33], v56 offset:80
	v_add_f32_e32 v15, v15, v17
	v_exp_f32_e32 v15, v15
	v_cvt_i32_f32_e32 v17, v36
	v_cmp_ngt_f32_e32 vcc, s4, v16
	v_pk_fma_f32 v[20:21], v[20:21], v[40:41], v[42:43]
	ds_read_b128 v[38:41], v56 offset:96
	ds_read_b128 v[42:45], v56 offset:112
	v_cndmask_b32_e32 v36, 0, v57, vcc
	v_cmp_nlt_f32_e32 vcc, s6, v16
	s_waitcnt lgkmcnt(3)
	v_fma_f32 v57, v22, v18, 0
	v_ldexp_f32 v15, v15, v17
	v_cndmask_b32_e32 v36, v37, v36, vcc
	v_cmp_ngt_f32_e32 vcc, s4, v14
	v_fmac_f32_e32 v57, v23, v19
	v_fmac_f32_e32 v57, v24, v20
	v_cndmask_b32_e32 v15, 0, v15, vcc
	v_cmp_nlt_f32_e32 vcc, s6, v14
	v_fmac_f32_e32 v57, v25, v21
	v_pk_mul_f32 v[26:27], v[0:1], v[26:27] op_sel_hi:[0,1]
	v_cndmask_b32_e32 v37, v37, v15, vcc
	ds_read_b128 v[14:17], v56 offset:32
	ds_read_b128 v[22:25], v56 offset:48
	v_pk_fma_f32 v[10:11], v[10:11], v[46:47], v[26:27]
	v_pk_mul_f32 v[26:27], v[0:1], v[28:29] op_sel_hi:[0,1]
	s_waitcnt lgkmcnt(4)
	v_fmac_f32_e32 v57, v30, v10
	v_fmac_f32_e32 v57, v31, v11
	v_pk_fma_f32 v[12:13], v[12:13], v[48:49], v[26:27]
	s_waitcnt lgkmcnt(1)
	v_pk_mul_f32 v[14:15], v[0:1], v[14:15] op_sel_hi:[0,1]
	v_fmac_f32_e32 v57, v32, v12
	v_fmac_f32_e32 v57, v33, v13
	v_pk_fma_f32 v[6:7], v[6:7], v[50:51], v[14:15]
	v_pk_mul_f32 v[14:15], v[0:1], v[16:17] op_sel_hi:[0,1]
	v_fmac_f32_e32 v57, v38, v6
	v_fmac_f32_e32 v57, v39, v7
	v_pk_fma_f32 v[8:9], v[8:9], v[52:53], v[14:15]
	s_waitcnt lgkmcnt(0)
	v_pk_mul_f32 v[14:15], v[0:1], v[22:23] op_sel_hi:[0,1]
	v_fmac_f32_e32 v57, v40, v8
	v_fmac_f32_e32 v57, v41, v9
	v_pk_fma_f32 v[2:3], v[2:3], v[54:55], v[14:15]
	v_pk_mul_f32 v[14:15], v[0:1], v[24:25] op_sel_hi:[0,1]
	v_fmac_f32_e32 v57, v42, v2
	v_fmac_f32_e32 v57, v43, v3
	v_pk_fma_f32 v[4:5], v[4:5], v[36:37], v[14:15]
	s_nop 0
	v_fmac_f32_e32 v57, v44, v4
	v_fmac_f32_e32 v57, v45, v5
	global_store_dword v1, v57, s[0:1]
	s_barrier
	global_store_dwordx4 v[34:35], v[18:21], off
	global_store_dwordx4 v[34:35], v[10:13], off offset:16
	global_store_dwordx4 v[34:35], v[6:9], off offset:32
	;; [unrolled: 1-line block ×3, first 2 shown]
	s_endpgm
	.section	.rodata,"a",@progbits
	.p2align	6, 0x0
	.amdhsa_kernel _Z12ssm_scan_f32ILm128ELm16ELm1EEvPKfS1_S1_S1_S1_S1_PKiPfiiiiiiiiiiilll
		.amdhsa_group_segment_fixed_size 128
		.amdhsa_private_segment_fixed_size 0
		.amdhsa_kernarg_size 136
		.amdhsa_user_sgpr_count 2
		.amdhsa_user_sgpr_dispatch_ptr 0
		.amdhsa_user_sgpr_queue_ptr 0
		.amdhsa_user_sgpr_kernarg_segment_ptr 1
		.amdhsa_user_sgpr_dispatch_id 0
		.amdhsa_user_sgpr_kernarg_preload_length 0
		.amdhsa_user_sgpr_kernarg_preload_offset 0
		.amdhsa_user_sgpr_private_segment_size 0
		.amdhsa_uses_dynamic_stack 0
		.amdhsa_enable_private_segment 0
		.amdhsa_system_sgpr_workgroup_id_x 1
		.amdhsa_system_sgpr_workgroup_id_y 1
		.amdhsa_system_sgpr_workgroup_id_z 0
		.amdhsa_system_sgpr_workgroup_info 0
		.amdhsa_system_vgpr_workitem_id 0
		.amdhsa_next_free_vgpr 58
		.amdhsa_next_free_sgpr 29
		.amdhsa_accum_offset 60
		.amdhsa_reserve_vcc 1
		.amdhsa_float_round_mode_32 0
		.amdhsa_float_round_mode_16_64 0
		.amdhsa_float_denorm_mode_32 3
		.amdhsa_float_denorm_mode_16_64 3
		.amdhsa_dx10_clamp 1
		.amdhsa_ieee_mode 1
		.amdhsa_fp16_overflow 0
		.amdhsa_tg_split 0
		.amdhsa_exception_fp_ieee_invalid_op 0
		.amdhsa_exception_fp_denorm_src 0
		.amdhsa_exception_fp_ieee_div_zero 0
		.amdhsa_exception_fp_ieee_overflow 0
		.amdhsa_exception_fp_ieee_underflow 0
		.amdhsa_exception_fp_ieee_inexact 0
		.amdhsa_exception_int_div_zero 0
	.end_amdhsa_kernel
	.section	.text._Z12ssm_scan_f32ILm128ELm16ELm1EEvPKfS1_S1_S1_S1_S1_PKiPfiiiiiiiiiiilll,"axG",@progbits,_Z12ssm_scan_f32ILm128ELm16ELm1EEvPKfS1_S1_S1_S1_S1_PKiPfiiiiiiiiiiilll,comdat
.Lfunc_end2:
	.size	_Z12ssm_scan_f32ILm128ELm16ELm1EEvPKfS1_S1_S1_S1_S1_PKiPfiiiiiiiiiiilll, .Lfunc_end2-_Z12ssm_scan_f32ILm128ELm16ELm1EEvPKfS1_S1_S1_S1_S1_PKiPfiiiiiiiiiiilll
                                        ; -- End function
	.set _Z12ssm_scan_f32ILm128ELm16ELm1EEvPKfS1_S1_S1_S1_S1_PKiPfiiiiiiiiiiilll.num_vgpr, 58
	.set _Z12ssm_scan_f32ILm128ELm16ELm1EEvPKfS1_S1_S1_S1_S1_PKiPfiiiiiiiiiiilll.num_agpr, 0
	.set _Z12ssm_scan_f32ILm128ELm16ELm1EEvPKfS1_S1_S1_S1_S1_PKiPfiiiiiiiiiiilll.numbered_sgpr, 29
	.set _Z12ssm_scan_f32ILm128ELm16ELm1EEvPKfS1_S1_S1_S1_S1_PKiPfiiiiiiiiiiilll.num_named_barrier, 0
	.set _Z12ssm_scan_f32ILm128ELm16ELm1EEvPKfS1_S1_S1_S1_S1_PKiPfiiiiiiiiiiilll.private_seg_size, 0
	.set _Z12ssm_scan_f32ILm128ELm16ELm1EEvPKfS1_S1_S1_S1_S1_PKiPfiiiiiiiiiiilll.uses_vcc, 1
	.set _Z12ssm_scan_f32ILm128ELm16ELm1EEvPKfS1_S1_S1_S1_S1_PKiPfiiiiiiiiiiilll.uses_flat_scratch, 0
	.set _Z12ssm_scan_f32ILm128ELm16ELm1EEvPKfS1_S1_S1_S1_S1_PKiPfiiiiiiiiiiilll.has_dyn_sized_stack, 0
	.set _Z12ssm_scan_f32ILm128ELm16ELm1EEvPKfS1_S1_S1_S1_S1_PKiPfiiiiiiiiiiilll.has_recursion, 0
	.set _Z12ssm_scan_f32ILm128ELm16ELm1EEvPKfS1_S1_S1_S1_S1_PKiPfiiiiiiiiiiilll.has_indirect_call, 0
	.section	.AMDGPU.csdata,"",@progbits
; Kernel info:
; codeLenInByte = 2828
; TotalNumSgprs: 35
; NumVgprs: 58
; NumAgprs: 0
; TotalNumVgprs: 58
; ScratchSize: 0
; MemoryBound: 0
; FloatMode: 240
; IeeeMode: 1
; LDSByteSize: 128 bytes/workgroup (compile time only)
; SGPRBlocks: 4
; VGPRBlocks: 7
; NumSGPRsForWavesPerEU: 35
; NumVGPRsForWavesPerEU: 58
; AccumOffset: 60
; Occupancy: 8
; WaveLimiterHint : 1
; COMPUTE_PGM_RSRC2:SCRATCH_EN: 0
; COMPUTE_PGM_RSRC2:USER_SGPR: 2
; COMPUTE_PGM_RSRC2:TRAP_HANDLER: 0
; COMPUTE_PGM_RSRC2:TGID_X_EN: 1
; COMPUTE_PGM_RSRC2:TGID_Y_EN: 1
; COMPUTE_PGM_RSRC2:TGID_Z_EN: 0
; COMPUTE_PGM_RSRC2:TIDIG_COMP_CNT: 0
; COMPUTE_PGM_RSRC3_GFX90A:ACCUM_OFFSET: 14
; COMPUTE_PGM_RSRC3_GFX90A:TG_SPLIT: 0
	.section	.text._Z12ssm_scan_f32ILm128ELm16ELm2EEvPKfS1_S1_S1_S1_S1_PKiPfiiiiiiiiiiilll,"axG",@progbits,_Z12ssm_scan_f32ILm128ELm16ELm2EEvPKfS1_S1_S1_S1_S1_PKiPfiiiiiiiiiiilll,comdat
	.protected	_Z12ssm_scan_f32ILm128ELm16ELm2EEvPKfS1_S1_S1_S1_S1_PKiPfiiiiiiiiiiilll ; -- Begin function _Z12ssm_scan_f32ILm128ELm16ELm2EEvPKfS1_S1_S1_S1_S1_PKiPfiiiiiiiiiiilll
	.globl	_Z12ssm_scan_f32ILm128ELm16ELm2EEvPKfS1_S1_S1_S1_S1_PKiPfiiiiiiiiiiilll
	.p2align	8
	.type	_Z12ssm_scan_f32ILm128ELm16ELm2EEvPKfS1_S1_S1_S1_S1_PKiPfiiiiiiiiiiilll,@function
_Z12ssm_scan_f32ILm128ELm16ELm2EEvPKfS1_S1_S1_S1_S1_PKiPfiiiiiiiiiiilll: ; @_Z12ssm_scan_f32ILm128ELm16ELm2EEvPKfS1_S1_S1_S1_S1_PKiPfiiiiiiiiiiilll
; %bb.0:
	s_load_dwordx16 s[4:19], s[0:1], 0x0
	s_load_dwordx8 s[20:27], s[0:1], 0x40
	s_mov_b32 s28, s3
	s_mov_b32 s3, 0
	s_lshl_b64 s[30:31], s[2:3], 2
	s_waitcnt lgkmcnt(0)
	s_add_u32 s16, s16, s30
	s_addc_u32 s17, s17, s31
	s_load_dword s16, s[16:17], 0x0
	v_mov_b32_e32 v35, 0
	s_load_dwordx4 s[36:39], s[0:1], 0x60
	v_cmp_gt_u32_e32 vcc, 16, v0
	s_waitcnt lgkmcnt(0)
	s_mul_i32 s16, s16, s21
	s_ashr_i32 s17, s16, 31
	s_add_u32 s4, s4, s16
	s_addc_u32 s5, s5, s17
	s_lshl_b32 s16, s28, 7
	s_ashr_i32 s17, s20, 31
	s_mul_i32 s17, s16, s17
	s_mul_hi_u32 s29, s16, s20
	s_add_i32 s17, s29, s17
	s_lshr_b32 s29, s28, 25
	s_mul_i32 s30, s29, s20
	s_add_i32 s33, s17, s30
	s_mul_i32 s40, s16, s20
	s_add_u32 s4, s4, s40
	s_addc_u32 s5, s5, s33
	s_ashr_i32 s17, s26, 31
	s_mul_i32 s17, s16, s17
	s_mul_hi_u32 s30, s16, s26
	s_add_i32 s17, s30, s17
	s_mul_i32 s29, s29, s26
	s_add_i32 s17, s17, s29
	s_mul_i32 s16, s16, s26
	s_add_u32 s10, s10, s16
	s_addc_u32 s11, s11, s17
	s_ashr_i32 s17, s26, 2
	s_ashr_i32 s16, s20, 2
	v_mul_lo_u32 v34, s17, v0
	v_lshl_add_u64 v[36:37], v[34:35], 2, s[10:11]
	v_mul_lo_u32 v34, s16, v0
	v_lshl_add_u64 v[38:39], v[34:35], 2, s[4:5]
	global_load_dwordx4 v[2:5], v[36:37], off offset:48
	global_load_dwordx4 v[6:9], v[36:37], off offset:32
	;; [unrolled: 1-line block ×3, first 2 shown]
	global_load_dwordx4 v[14:17], v[36:37], off
	global_load_dwordx4 v[18:21], v[38:39], off offset:48
	global_load_dwordx4 v[22:25], v[38:39], off offset:32
	;; [unrolled: 1-line block ×3, first 2 shown]
	global_load_dwordx4 v[30:33], v[38:39], off
	s_mov_b32 s29, s3
	s_mul_i32 s3, s36, s2
	s_add_u32 s4, s12, s3
	s_mul_i32 s10, s38, s2
	s_addc_u32 s5, s13, 0
	s_add_u32 s10, s14, s10
	s_addc_u32 s11, s15, 0
	v_lshlrev_b32_e32 v38, 2, v0
	v_mov_b32_e32 v39, v35
	v_lshl_add_u64 v[42:43], s[4:5], 0, v[38:39]
	v_lshl_add_u64 v[40:41], s[10:11], 0, v[38:39]
	v_add_u32_e32 v47, 64, v38
	s_and_saveexec_b64 s[4:5], vcc
	s_cbranch_execz .LBB3_2
; %bb.1:
	global_load_dword v0, v[42:43], off
	global_load_dword v1, v[40:41], off
	s_waitcnt vmcnt(1)
	ds_write_b32 v38, v0
	s_waitcnt vmcnt(0)
	ds_write_b32 v47, v1
.LBB3_2:
	s_or_b64 exec, exec, s[4:5]
	s_lshl_b64 s[34:35], s[28:29], 9
	s_mul_i32 s3, s25, s2
	s_add_u32 s3, s8, s3
	s_addc_u32 s4, s9, 0
	s_add_u32 s8, s3, s34
	s_addc_u32 s9, s4, s35
	s_waitcnt lgkmcnt(0)
	s_barrier
	global_load_dword v48, v38, s[8:9]
	s_mov_b32 s3, 0x41a00000
	s_waitcnt vmcnt(0)
	v_cmp_ge_f32_e64 s[4:5], s3, v48
	s_and_saveexec_b64 s[10:11], s[4:5]
	s_cbranch_execz .LBB3_4
; %bb.3:
	v_mul_f32_e32 v0, 0x3fb8aa3b, v48
	s_mov_b32 s3, 0x3fb8aa3b
	v_rndne_f32_e32 v1, v0
	v_sub_f32_e32 v36, v0, v1
	v_fma_f32 v0, v48, s3, -v0
	v_fmamk_f32 v0, v48, 0x32a5705f, v0
	v_add_f32_e32 v0, v36, v0
	v_exp_f32_e32 v0, v0
	v_cvt_i32_f32_e32 v1, v1
	s_mov_b32 s3, 0xc2ce8ed0
	v_cmp_ngt_f32_e64 s[4:5], s3, v48
	s_mov_b32 s3, 0x42b17218
	v_ldexp_f32 v0, v0, v1
	v_cndmask_b32_e64 v0, 0, v0, s[4:5]
	v_mov_b32_e32 v46, 0x7f800000
	v_cmp_nlt_f32_e64 s[4:5], s3, v48
	s_mov_b32 s3, 0x3f2aaaab
	s_mov_b32 s12, 0x7f800000
	v_cndmask_b32_e64 v56, v46, v0, s[4:5]
	v_add_f32_e32 v36, 1.0, v56
	v_add_f32_e32 v0, -1.0, v36
	v_sub_f32_e32 v1, v0, v36
	v_add_f32_e32 v1, 1.0, v1
	v_sub_f32_e32 v0, v56, v0
	v_add_f32_e32 v37, v0, v1
	v_frexp_mant_f32_e32 v44, v36
	v_cvt_f64_f32_e32 v[0:1], v36
	v_frexp_exp_i32_f64_e32 v0, v[0:1]
	v_cmp_gt_f32_e64 s[4:5], s3, v44
	s_mov_b32 s3, 0x3f317218
	s_nop 0
	v_subbrev_co_u32_e64 v50, s[4:5], 0, v0, s[4:5]
	v_sub_u32_e32 v0, 0, v50
	v_ldexp_f32 v1, v36, v0
	v_add_f32_e32 v36, -1.0, v1
	v_add_f32_e32 v44, 1.0, v1
	v_ldexp_f32 v0, v37, v0
	v_add_f32_e32 v37, 1.0, v36
	v_add_f32_e32 v45, -1.0, v44
	v_sub_f32_e32 v37, v1, v37
	v_sub_f32_e32 v1, v1, v45
	v_add_f32_e32 v37, v0, v37
	v_add_f32_e32 v0, v0, v1
	;; [unrolled: 1-line block ×3, first 2 shown]
	v_rcp_f32_e32 v53, v51
	v_sub_f32_e32 v1, v44, v51
	v_add_f32_e32 v52, v0, v1
	v_add_f32_e32 v1, v36, v37
	v_mul_f32_e32 v55, v1, v53
	v_sub_f32_e32 v0, v36, v1
	v_mul_f32_e32 v36, v51, v55
	v_fma_f32 v44, v55, v51, -v36
	v_fmac_f32_e32 v44, v55, v52
	v_add_f32_e32 v54, v37, v0
	v_add_f32_e32 v0, v36, v44
	v_sub_f32_e32 v37, v1, v0
	v_pk_add_f32 v[48:49], v[0:1], v[36:37] neg_lo:[0,1] neg_hi:[0,1]
	v_mov_b32_e32 v45, v0
	v_pk_add_f32 v[0:1], v[48:49], v[44:45] neg_lo:[0,1] neg_hi:[0,1]
	v_cmp_neq_f32_e64 s[4:5], s12, v56
	v_add_f32_e32 v1, v54, v1
	v_add_f32_e32 v0, v0, v1
	v_add_f32_e32 v1, v37, v0
	v_mul_f32_e32 v54, v53, v1
	v_mul_f32_e32 v36, v51, v54
	v_fma_f32 v44, v54, v51, -v36
	v_fmac_f32_e32 v44, v54, v52
	v_sub_f32_e32 v37, v37, v1
	v_add_f32_e32 v51, v0, v37
	v_add_f32_e32 v0, v36, v44
	v_sub_f32_e32 v37, v1, v0
	v_pk_add_f32 v[48:49], v[0:1], v[36:37] neg_lo:[0,1] neg_hi:[0,1]
	v_mov_b32_e32 v45, v0
	v_pk_add_f32 v[0:1], v[48:49], v[44:45] neg_lo:[0,1] neg_hi:[0,1]
	v_cvt_f32_i32_e32 v36, v50
	v_add_f32_e32 v1, v51, v1
	v_add_f32_e32 v0, v0, v1
	;; [unrolled: 1-line block ×4, first 2 shown]
	v_sub_f32_e32 v1, v37, v55
	v_mul_f32_e32 v0, v53, v0
	v_sub_f32_e32 v1, v54, v1
	v_add_f32_e32 v0, v1, v0
	v_add_f32_e32 v44, v37, v0
	v_mul_f32_e32 v48, v44, v44
	v_mov_b32_e32 v1, 0x3ecc95a3
	v_sub_f32_e32 v37, v44, v37
	v_fmac_f32_e32 v1, 0x3e9b6dac, v48
	v_sub_f32_e32 v0, v0, v37
	v_fmaak_f32 v1, v48, v1, 0x3f2aaada
	v_ldexp_f32 v49, v0, 1
	v_mul_f32_e32 v37, v44, v48
	v_mov_b32_e32 v0, 0x3f317218
	v_pk_mul_f32 v[0:1], v[36:37], v[0:1]
	v_ldexp_f32 v45, v44, 1
	v_fma_f32 v37, v36, s3, -v0
	v_fmamk_f32 v44, v36, 0xb102e308, v37
	v_pk_add_f32 v[36:37], v[0:1], v[44:45]
	v_mov_b32_e32 v48, v0
	v_sub_f32_e32 v45, v37, v45
	v_sub_f32_e32 v45, v1, v45
	v_add_f32_e32 v49, v49, v45
	v_pk_add_f32 v[0:1], v[36:37], v[0:1] neg_lo:[0,1] neg_hi:[0,1]
	v_pk_add_f32 v[50:51], v[36:37], v[48:49]
	v_mov_b32_e32 v45, v36
	v_mov_b32_e32 v1, v51
	v_pk_add_f32 v[52:53], v[44:45], v[0:1] neg_lo:[0,1] neg_hi:[0,1]
	v_pk_add_f32 v[0:1], v[44:45], v[0:1]
	v_mov_b32_e32 v48, v49
	v_pk_add_f32 v[44:45], v[0:1], v[36:37] op_sel:[1,0] op_sel_hi:[0,1] neg_lo:[0,1] neg_hi:[0,1]
	v_pk_add_f32 v[54:55], v[50:51], v[44:45] op_sel_hi:[1,0] neg_lo:[0,1] neg_hi:[0,1]
	v_mov_b32_e32 v50, v51
	v_mov_b32_e32 v51, v1
	v_pk_mov_b32 v[44:45], v[36:37], v[44:45] op_sel:[1,0]
	v_mov_b32_e32 v49, v36
	v_pk_add_f32 v[44:45], v[50:51], v[44:45] neg_lo:[0,1] neg_hi:[0,1]
	v_mov_b32_e32 v54, v52
	v_pk_add_f32 v[36:37], v[48:49], v[44:45] neg_lo:[0,1] neg_hi:[0,1]
	v_mov_b32_e32 v53, v1
	v_pk_add_f32 v[44:45], v[54:55], v[36:37]
	s_mov_b32 s3, 0x33800000
	v_pk_add_f32 v[48:49], v[44:45], v[44:45] op_sel:[0,1] op_sel_hi:[1,0]
	s_nop 0
	v_pk_add_f32 v[0:1], v[0:1], v[48:49] op_sel:[1,0] op_sel_hi:[0,1]
	v_mov_b32_e32 v45, v0
	v_pk_add_f32 v[50:51], v[44:45], v[52:53] neg_lo:[0,1] neg_hi:[0,1]
	v_mov_b32_e32 v37, v48
	v_sub_f32_e32 v1, v44, v50
	v_pk_add_f32 v[36:37], v[36:37], v[50:51] neg_lo:[0,1] neg_hi:[0,1]
	v_sub_f32_e32 v1, v52, v1
	v_add_f32_e32 v1, v36, v1
	v_add_f32_e32 v1, v1, v37
	;; [unrolled: 1-line block ×3, first 2 shown]
	v_cndmask_b32_e64 v0, v46, v0, s[4:5]
	v_cmp_gt_f32_e64 s[4:5], s3, v56
	s_nop 1
	v_cndmask_b32_e64 v48, v0, v56, s[4:5]
.LBB3_4:
	s_or_b64 exec, exec, s[10:11]
	s_load_dwordx4 s[28:31], s[0:1], 0x70
	s_mul_i32 s4, s23, s2
	v_mul_f32_e32 v0, v48, v14
	v_mul_f32_e32 v1, v48, v15
	s_mov_b32 s26, 0x3fb8aa3b
	s_waitcnt lgkmcnt(0)
	s_mul_i32 s1, s2, s31
	s_mul_hi_u32 s3, s2, s30
	s_mul_i32 s0, s2, s30
	s_add_i32 s1, s3, s1
	s_lshl_b64 s[0:1], s[0:1], 3
	s_add_u32 s3, s18, s0
	s_addc_u32 s20, s19, s1
	s_add_u32 s0, s6, s4
	s_addc_u32 s1, s7, 0
	;; [unrolled: 2-line block ×3, first 2 shown]
	global_load_dword v36, v38, s[38:39]
	v_mul_f32_e32 v37, v48, v16
	v_mul_f32_e32 v50, 0x3fb8aa3b, v0
	;; [unrolled: 1-line block ×3, first 2 shown]
	s_mov_b32 s23, 0xc2ce8ed0
	s_mov_b32 s25, 0x42b17218
	v_mul_f32_e32 v46, v48, v17
	v_mul_f32_e32 v52, 0x3fb8aa3b, v37
	v_fma_f32 v54, v0, s26, -v50
	v_rndne_f32_e32 v55, v50
	v_fma_f32 v56, v1, s26, -v51
	v_lshl_add_u64 v[44:45], s[8:9], 0, v[38:39]
	v_mul_f32_e32 v53, 0x3fb8aa3b, v46
	v_cmp_ngt_f32_e64 s[4:5], s23, v1
	v_cmp_nlt_f32_e64 s[8:9], s25, v1
	v_fmac_f32_e32 v54, 0x32a5705f, v0
	v_fmac_f32_e32 v56, 0x32a5705f, v1
	v_fma_f32 v1, v37, s26, -v52
	v_sub_f32_e32 v50, v50, v55
	v_cmp_ngt_f32_e64 s[14:15], s23, v37
	v_cmp_nlt_f32_e64 s[16:17], s25, v37
	v_fmac_f32_e32 v1, 0x32a5705f, v37
	v_fma_f32 v37, v46, s26, -v53
	v_add_f32_e32 v50, v50, v54
	v_cmp_ngt_f32_e64 s[0:1], s23, v0
	v_cmp_nlt_f32_e64 s[6:7], s25, v0
	v_cmp_ngt_f32_e64 s[10:11], s23, v46
	v_cmp_nlt_f32_e64 s[12:13], s25, v46
	v_rndne_f32_e32 v0, v51
	v_fmac_f32_e32 v37, 0x32a5705f, v46
	v_rndne_f32_e32 v46, v52
	v_rndne_f32_e32 v54, v53
	v_cvt_i32_f32_e32 v55, v55
	v_exp_f32_e32 v50, v50
	v_sub_f32_e32 v51, v51, v0
	v_sub_f32_e32 v52, v52, v46
	;; [unrolled: 1-line block ×3, first 2 shown]
	v_add_f32_e32 v51, v51, v56
	v_add_f32_e32 v1, v52, v1
	;; [unrolled: 1-line block ×3, first 2 shown]
	v_mov_b32_e32 v39, 0
	v_cvt_i32_f32_e32 v0, v0
	v_cvt_i32_f32_e32 v46, v46
	;; [unrolled: 1-line block ×3, first 2 shown]
	v_exp_f32_e32 v56, v51
	v_exp_f32_e32 v1, v1
	;; [unrolled: 1-line block ×3, first 2 shown]
	v_ldexp_f32 v55, v50, v55
	ds_read_b128 v[50:53], v39
	v_mov_b32_e32 v49, 0x7f800000
	v_ldexp_f32 v0, v56, v0
	v_ldexp_f32 v1, v1, v46
	;; [unrolled: 1-line block ×3, first 2 shown]
	v_cndmask_b32_e64 v46, 0, v55, s[0:1]
	v_mul_f32_e32 v58, v48, v10
	v_cndmask_b32_e64 v54, 0, v0, s[4:5]
	v_cndmask_b32_e64 v37, 0, v37, s[10:11]
	;; [unrolled: 1-line block ×4, first 2 shown]
	v_mul_f32_e32 v60, 0x3fb8aa3b, v58
	v_cndmask_b32_e64 v1, v49, v54, s[8:9]
	v_cndmask_b32_e64 v54, v49, v55, s[16:17]
	;; [unrolled: 1-line block ×3, first 2 shown]
	v_mul_f32_e32 v59, v48, v11
	v_cmp_ngt_f32_e64 s[0:1], s23, v58
	s_add_u32 s8, s3, s34
	s_addc_u32 s9, s20, s35
	s_waitcnt vmcnt(0)
	v_mul_f32_e32 v46, v48, v36
	s_waitcnt lgkmcnt(0)
	v_pk_mul_f32 v[36:37], v[46:47], v[50:51] op_sel_hi:[0,1]
	v_pk_mul_f32 v[56:57], v[46:47], v[52:53] op_sel_hi:[0,1]
	v_pk_fma_f32 v[36:37], v[30:31], v[0:1], v[36:37]
	v_fma_f32 v0, v58, s26, -v60
	v_rndne_f32_e32 v1, v60
	v_pk_fma_f32 v[30:31], v[32:33], v[54:55], v[56:57]
	v_fmac_f32_e32 v0, 0x32a5705f, v58
	v_sub_f32_e32 v32, v60, v1
	v_add_f32_e32 v0, v32, v0
	v_cvt_i32_f32_e32 v1, v1
	v_exp_f32_e32 v0, v0
	v_mul_f32_e32 v32, 0x3fb8aa3b, v59
	v_fma_f32 v33, v59, s26, -v32
	v_fmac_f32_e32 v33, 0x32a5705f, v59
	v_ldexp_f32 v0, v0, v1
	v_rndne_f32_e32 v1, v32
	v_sub_f32_e32 v32, v32, v1
	v_add_f32_e32 v32, v32, v33
	v_exp_f32_e32 v32, v32
	v_cvt_i32_f32_e32 v1, v1
	ds_read_b128 v[50:53], v39 offset:16
	ds_read_b128 v[54:57], v39 offset:64
	v_cndmask_b32_e64 v0, 0, v0, s[0:1]
	v_cmp_nlt_f32_e64 s[0:1], s25, v58
	v_ldexp_f32 v1, v32, v1
	s_waitcnt lgkmcnt(1)
	v_pk_mul_f32 v[32:33], v[46:47], v[50:51] op_sel_hi:[0,1]
	v_cndmask_b32_e64 v0, v49, v0, s[0:1]
	v_cmp_ngt_f32_e64 s[0:1], s23, v59
	s_waitcnt lgkmcnt(0)
	v_fma_f32 v54, v54, v36, 0
	v_fmac_f32_e32 v54, v55, v37
	v_cndmask_b32_e64 v1, 0, v1, s[0:1]
	v_cmp_nlt_f32_e64 s[0:1], s25, v59
	v_mul_f32_e32 v55, v48, v13
	v_fmac_f32_e32 v54, v56, v30
	v_cndmask_b32_e64 v1, v49, v1, s[0:1]
	v_pk_fma_f32 v[0:1], v[26:27], v[0:1], v[32:33]
	v_mul_f32_e32 v32, v48, v12
	v_mul_f32_e32 v26, 0x3fb8aa3b, v32
	v_fma_f32 v27, v32, s26, -v26
	v_rndne_f32_e32 v33, v26
	v_fmac_f32_e32 v27, 0x32a5705f, v32
	v_sub_f32_e32 v26, v26, v33
	v_add_f32_e32 v26, v26, v27
	v_mul_f32_e32 v27, 0x3fb8aa3b, v55
	v_fma_f32 v50, v55, s26, -v27
	v_rndne_f32_e32 v51, v27
	v_fmac_f32_e32 v50, 0x32a5705f, v55
	v_sub_f32_e32 v27, v27, v51
	v_add_f32_e32 v27, v27, v50
	v_exp_f32_e32 v26, v26
	v_cvt_i32_f32_e32 v33, v33
	v_exp_f32_e32 v27, v27
	v_cvt_i32_f32_e32 v50, v51
	v_cmp_ngt_f32_e64 s[0:1], s23, v55
	v_ldexp_f32 v33, v26, v33
	v_cmp_ngt_f32_e64 s[4:5], s23, v32
	v_ldexp_f32 v56, v27, v50
	v_cndmask_b32_e64 v56, 0, v56, s[0:1]
	v_cmp_nlt_f32_e64 s[0:1], s25, v55
	v_cndmask_b32_e64 v33, 0, v33, s[4:5]
	v_cmp_nlt_f32_e64 s[4:5], s25, v32
	v_pk_mul_f32 v[26:27], v[46:47], v[52:53] op_sel_hi:[0,1]
	ds_read_b128 v[50:53], v39 offset:80
	v_cndmask_b32_e64 v32, v49, v33, s[4:5]
	v_cndmask_b32_e64 v33, v49, v56, s[0:1]
	v_pk_fma_f32 v[26:27], v[28:29], v[32:33], v[26:27]
	v_mul_f32_e32 v32, v48, v6
	v_mul_f32_e32 v28, 0x3fb8aa3b, v32
	v_fma_f32 v29, v32, s26, -v28
	v_rndne_f32_e32 v33, v28
	v_fmac_f32_e32 v29, 0x32a5705f, v32
	v_sub_f32_e32 v28, v28, v33
	v_add_f32_e32 v28, v28, v29
	v_exp_f32_e32 v55, v28
	v_cvt_i32_f32_e32 v33, v33
	v_fmac_f32_e32 v54, v57, v31
	s_waitcnt lgkmcnt(0)
	v_pk_mul_f32 v[28:29], v[50:51], v[0:1]
	v_cmp_ngt_f32_e64 s[0:1], s23, v32
	v_add_f32_e32 v28, v54, v28
	v_add_f32_e32 v50, v28, v29
	v_mul_f32_e32 v29, v48, v7
	v_ldexp_f32 v28, v55, v33
	v_mul_f32_e32 v33, 0x3fb8aa3b, v29
	v_fma_f32 v51, v29, s26, -v33
	v_rndne_f32_e32 v54, v33
	v_fmac_f32_e32 v51, 0x32a5705f, v29
	v_sub_f32_e32 v33, v33, v54
	v_add_f32_e32 v33, v33, v51
	v_exp_f32_e32 v33, v33
	v_cvt_i32_f32_e32 v51, v54
	ds_read_b128 v[54:57], v39 offset:32
	v_cmp_nlt_f32_e64 s[4:5], s25, v32
	v_cndmask_b32_e64 v28, 0, v28, s[0:1]
	v_ldexp_f32 v32, v33, v51
	v_cmp_ngt_f32_e64 s[0:1], s23, v29
	v_cndmask_b32_e64 v28, v49, v28, s[4:5]
	s_nop 0
	v_cndmask_b32_e64 v32, 0, v32, s[0:1]
	v_cmp_nlt_f32_e64 s[0:1], s25, v29
	s_nop 1
	v_cndmask_b32_e64 v29, v49, v32, s[0:1]
	s_waitcnt lgkmcnt(0)
	v_pk_mul_f32 v[32:33], v[46:47], v[54:55] op_sel_hi:[0,1]
	v_pk_fma_f32 v[22:23], v[22:23], v[28:29], v[32:33]
	v_mul_f32_e32 v32, v48, v8
	v_mul_f32_e32 v33, 0x3fb8aa3b, v32
	v_fma_f32 v51, v32, s26, -v33
	v_rndne_f32_e32 v54, v33
	v_fmac_f32_e32 v51, 0x32a5705f, v32
	v_sub_f32_e32 v33, v33, v54
	v_add_f32_e32 v33, v33, v51
	v_exp_f32_e32 v33, v33
	v_cvt_i32_f32_e32 v51, v54
	v_pk_mul_f32 v[28:29], v[46:47], v[56:57] op_sel_hi:[0,1]
	v_cmp_ngt_f32_e64 s[4:5], s23, v32
	v_ldexp_f32 v33, v33, v51
	v_mul_f32_e32 v51, v48, v9
	v_mul_f32_e32 v54, 0x3fb8aa3b, v51
	v_fma_f32 v55, v51, s26, -v54
	v_rndne_f32_e32 v56, v54
	v_fmac_f32_e32 v55, 0x32a5705f, v51
	v_sub_f32_e32 v54, v54, v56
	v_add_f32_e32 v54, v54, v55
	v_exp_f32_e32 v54, v54
	v_cvt_i32_f32_e32 v55, v56
	v_cmp_ngt_f32_e64 s[0:1], s23, v51
	v_cndmask_b32_e64 v33, 0, v33, s[4:5]
	v_cmp_nlt_f32_e64 s[4:5], s25, v32
	v_ldexp_f32 v54, v54, v55
	v_cndmask_b32_e64 v54, 0, v54, s[0:1]
	v_cmp_nlt_f32_e64 s[0:1], s25, v51
	v_cndmask_b32_e64 v32, v49, v33, s[4:5]
	s_nop 0
	v_cndmask_b32_e64 v33, v49, v54, s[0:1]
	ds_read_b128 v[54:57], v39 offset:96
	ds_read_b128 v[58:61], v39 offset:48
	v_pk_fma_f32 v[24:25], v[24:25], v[32:33], v[28:29]
	v_pk_mul_f32 v[28:29], v[52:53], v[26:27]
	v_mul_f32_e32 v33, v48, v2
	v_add_f32_e32 v28, v50, v28
	v_add_f32_e32 v32, v28, v29
	s_waitcnt lgkmcnt(1)
	v_pk_mul_f32 v[28:29], v[54:55], v[22:23]
	v_cmp_ngt_f32_e64 s[0:1], s23, v33
	v_add_f32_e32 v28, v32, v28
	v_add_f32_e32 v32, v28, v29
	v_mul_f32_e32 v28, 0x3fb8aa3b, v33
	v_fma_f32 v29, v33, s26, -v28
	v_rndne_f32_e32 v50, v28
	v_fmac_f32_e32 v29, 0x32a5705f, v33
	v_sub_f32_e32 v28, v28, v50
	v_add_f32_e32 v28, v28, v29
	v_exp_f32_e32 v51, v28
	v_cvt_i32_f32_e32 v50, v50
	v_pk_mul_f32 v[28:29], v[56:57], v[24:25]
	v_cmp_nlt_f32_e64 s[4:5], s25, v33
	v_add_f32_e32 v28, v32, v28
	v_add_f32_e32 v54, v28, v29
	v_mul_f32_e32 v29, v48, v3
	v_mul_f32_e32 v32, 0x3fb8aa3b, v29
	v_ldexp_f32 v28, v51, v50
	v_fma_f32 v50, v29, s26, -v32
	v_rndne_f32_e32 v51, v32
	v_fmac_f32_e32 v50, 0x32a5705f, v29
	v_sub_f32_e32 v32, v32, v51
	v_add_f32_e32 v32, v32, v50
	v_exp_f32_e32 v32, v32
	v_cvt_i32_f32_e32 v55, v51
	ds_read_b128 v[50:53], v39 offset:112
	v_cndmask_b32_e64 v28, 0, v28, s[0:1]
	v_cmp_ngt_f32_e64 s[0:1], s23, v29
	v_ldexp_f32 v32, v32, v55
	v_cndmask_b32_e64 v28, v49, v28, s[4:5]
	v_cndmask_b32_e64 v32, 0, v32, s[0:1]
	v_cmp_nlt_f32_e64 s[0:1], s25, v29
	s_nop 1
	v_cndmask_b32_e64 v29, v49, v32, s[0:1]
	s_waitcnt lgkmcnt(1)
	v_pk_mul_f32 v[32:33], v[46:47], v[58:59] op_sel_hi:[0,1]
	v_pk_fma_f32 v[18:19], v[18:19], v[28:29], v[32:33]
	s_waitcnt lgkmcnt(0)
	v_pk_mul_f32 v[28:29], v[50:51], v[18:19]
	s_nop 0
	v_add_f32_e32 v28, v54, v28
	v_add_f32_e32 v50, v28, v29
	v_mul_f32_e32 v28, v48, v4
	v_mul_f32_e32 v29, 0x3fb8aa3b, v28
	v_fma_f32 v32, v28, s26, -v29
	v_rndne_f32_e32 v33, v29
	v_fmac_f32_e32 v32, 0x32a5705f, v28
	v_sub_f32_e32 v29, v29, v33
	v_add_f32_e32 v29, v29, v32
	v_exp_f32_e32 v29, v29
	v_cvt_i32_f32_e32 v32, v33
	v_cmp_ngt_f32_e64 s[0:1], s23, v28
	v_cmp_nlt_f32_e64 s[4:5], s25, v28
	v_ldexp_f32 v29, v29, v32
	v_mul_f32_e32 v32, v48, v5
	v_mul_f32_e32 v33, 0x3fb8aa3b, v32
	v_fma_f32 v48, v32, s26, -v33
	v_rndne_f32_e32 v51, v33
	v_fmac_f32_e32 v48, 0x32a5705f, v32
	v_sub_f32_e32 v33, v33, v51
	v_add_f32_e32 v33, v33, v48
	v_exp_f32_e32 v28, v33
	v_cvt_i32_f32_e32 v33, v51
	v_cmp_nlt_f32_e64 s[6:7], s25, v32
	v_ldexp_f32 v33, v28, v33
	v_cndmask_b32_e64 v28, 0, v29, s[0:1]
	v_cmp_ngt_f32_e64 s[0:1], s23, v32
	v_cndmask_b32_e64 v28, v49, v28, s[4:5]
	s_nop 0
	v_cndmask_b32_e64 v29, 0, v33, s[0:1]
	v_cndmask_b32_e64 v29, v49, v29, s[6:7]
	v_pk_mul_f32 v[32:33], v[46:47], v[60:61] op_sel_hi:[0,1]
	v_pk_fma_f32 v[20:21], v[20:21], v[28:29], v[32:33]
	s_nop 0
	v_pk_mul_f32 v[28:29], v[52:53], v[20:21]
	s_nop 0
	v_add_f32_e32 v28, v50, v28
	v_add_f32_e32 v28, v28, v29
	global_store_dword v38, v28, s[8:9]
	s_barrier
	s_and_saveexec_b64 s[0:1], vcc
	s_cbranch_execz .LBB3_6
; %bb.5:
	s_ashr_i32 s4, s27, 2
	s_ashr_i32 s6, s37, 2
	;; [unrolled: 1-line block ×4, first 2 shown]
	v_lshl_add_u64 v[28:29], s[4:5], 2, v[42:43]
	global_load_dword v32, v[28:29], off
	v_lshl_add_u64 v[28:29], s[6:7], 2, v[40:41]
	global_load_dword v28, v[28:29], off
	s_waitcnt vmcnt(1)
	ds_write_b32 v38, v32
	s_waitcnt vmcnt(0)
	ds_write_b32 v47, v28
.LBB3_6:
	s_or_b64 exec, exec, s[0:1]
	s_ashr_i32 s0, s24, 2
	s_ashr_i32 s1, s0, 31
	v_lshl_add_u64 v[28:29], s[0:1], 2, v[44:45]
	s_waitcnt lgkmcnt(0)
	s_barrier
	global_load_dword v40, v[28:29], off
	s_mov_b32 s0, 0x41a00000
	v_lshl_add_u64 v[32:33], s[38:39], 0, v[38:39]
	v_lshl_add_u64 v[28:29], s[8:9], 0, v[38:39]
	s_waitcnt vmcnt(0)
	v_cmp_ge_f32_e32 vcc, s0, v40
	s_and_saveexec_b64 s[0:1], vcc
	s_cbranch_execz .LBB3_8
; %bb.7:
	v_mul_f32_e32 v38, 0x3fb8aa3b, v40
	s_mov_b32 s3, 0x3fb8aa3b
	v_rndne_f32_e32 v39, v38
	v_sub_f32_e32 v41, v38, v39
	v_fma_f32 v38, v40, s3, -v38
	v_fmamk_f32 v38, v40, 0x32a5705f, v38
	v_add_f32_e32 v38, v41, v38
	v_exp_f32_e32 v38, v38
	v_cvt_i32_f32_e32 v39, v39
	s_mov_b32 s3, 0xc2ce8ed0
	v_cmp_ngt_f32_e32 vcc, s3, v40
	s_mov_b32 s3, 0x42b17218
	v_ldexp_f32 v38, v38, v39
	v_cndmask_b32_e32 v38, 0, v38, vcc
	v_mov_b32_e32 v52, 0x7f800000
	v_cmp_nlt_f32_e32 vcc, s3, v40
	s_mov_b32 s3, 0x3f2aaaab
	s_mov_b32 s4, 0x7f800000
	v_cndmask_b32_e32 v53, v52, v38, vcc
	v_add_f32_e32 v40, 1.0, v53
	v_add_f32_e32 v38, -1.0, v40
	v_sub_f32_e32 v39, v38, v40
	v_add_f32_e32 v39, 1.0, v39
	v_sub_f32_e32 v38, v53, v38
	v_add_f32_e32 v41, v38, v39
	v_frexp_mant_f32_e32 v42, v40
	v_cvt_f64_f32_e32 v[38:39], v40
	v_frexp_exp_i32_f64_e32 v38, v[38:39]
	v_cmp_gt_f32_e32 vcc, s3, v42
	s_mov_b32 s3, 0x3f317218
	s_nop 0
	v_subbrev_co_u32_e32 v46, vcc, 0, v38, vcc
	v_sub_u32_e32 v38, 0, v46
	v_ldexp_f32 v39, v40, v38
	v_add_f32_e32 v40, -1.0, v39
	v_add_f32_e32 v42, 1.0, v39
	v_ldexp_f32 v38, v41, v38
	v_add_f32_e32 v41, 1.0, v40
	v_add_f32_e32 v43, -1.0, v42
	v_sub_f32_e32 v41, v39, v41
	v_sub_f32_e32 v39, v39, v43
	v_add_f32_e32 v41, v38, v41
	v_add_f32_e32 v38, v38, v39
	;; [unrolled: 1-line block ×3, first 2 shown]
	v_rcp_f32_e32 v49, v47
	v_sub_f32_e32 v39, v42, v47
	v_add_f32_e32 v48, v38, v39
	v_add_f32_e32 v39, v40, v41
	v_mul_f32_e32 v51, v39, v49
	v_sub_f32_e32 v38, v40, v39
	v_mul_f32_e32 v40, v47, v51
	v_fma_f32 v42, v51, v47, -v40
	v_fmac_f32_e32 v42, v51, v48
	v_add_f32_e32 v50, v41, v38
	v_add_f32_e32 v38, v40, v42
	v_sub_f32_e32 v41, v39, v38
	v_pk_add_f32 v[44:45], v[38:39], v[40:41] neg_lo:[0,1] neg_hi:[0,1]
	v_mov_b32_e32 v43, v38
	v_pk_add_f32 v[38:39], v[44:45], v[42:43] neg_lo:[0,1] neg_hi:[0,1]
	v_cmp_neq_f32_e32 vcc, s4, v53
	v_add_f32_e32 v39, v50, v39
	v_add_f32_e32 v38, v38, v39
	;; [unrolled: 1-line block ×3, first 2 shown]
	v_mul_f32_e32 v50, v49, v39
	v_mul_f32_e32 v40, v47, v50
	v_fma_f32 v42, v50, v47, -v40
	v_fmac_f32_e32 v42, v50, v48
	v_sub_f32_e32 v41, v41, v39
	v_add_f32_e32 v47, v38, v41
	v_add_f32_e32 v38, v40, v42
	v_sub_f32_e32 v41, v39, v38
	v_pk_add_f32 v[44:45], v[38:39], v[40:41] neg_lo:[0,1] neg_hi:[0,1]
	v_mov_b32_e32 v43, v38
	v_pk_add_f32 v[38:39], v[44:45], v[42:43] neg_lo:[0,1] neg_hi:[0,1]
	v_cvt_f32_i32_e32 v40, v46
	v_add_f32_e32 v39, v47, v39
	v_add_f32_e32 v38, v38, v39
	;; [unrolled: 1-line block ×4, first 2 shown]
	v_sub_f32_e32 v39, v41, v51
	v_mul_f32_e32 v38, v49, v38
	v_sub_f32_e32 v39, v50, v39
	v_add_f32_e32 v38, v39, v38
	v_add_f32_e32 v42, v41, v38
	v_mul_f32_e32 v44, v42, v42
	v_mov_b32_e32 v39, 0x3ecc95a3
	v_sub_f32_e32 v41, v42, v41
	v_fmac_f32_e32 v39, 0x3e9b6dac, v44
	v_sub_f32_e32 v38, v38, v41
	v_fmaak_f32 v39, v44, v39, 0x3f2aaada
	v_ldexp_f32 v45, v38, 1
	v_mul_f32_e32 v41, v42, v44
	v_mov_b32_e32 v38, 0x3f317218
	v_pk_mul_f32 v[38:39], v[40:41], v[38:39]
	v_ldexp_f32 v43, v42, 1
	v_fma_f32 v41, v40, s3, -v38
	v_fmamk_f32 v42, v40, 0xb102e308, v41
	v_pk_add_f32 v[40:41], v[38:39], v[42:43]
	v_mov_b32_e32 v44, v38
	v_sub_f32_e32 v43, v41, v43
	v_sub_f32_e32 v43, v39, v43
	v_add_f32_e32 v45, v45, v43
	v_pk_add_f32 v[38:39], v[40:41], v[38:39] neg_lo:[0,1] neg_hi:[0,1]
	v_pk_add_f32 v[46:47], v[40:41], v[44:45]
	v_mov_b32_e32 v43, v40
	v_mov_b32_e32 v39, v47
	v_pk_add_f32 v[48:49], v[42:43], v[38:39] neg_lo:[0,1] neg_hi:[0,1]
	v_pk_add_f32 v[38:39], v[42:43], v[38:39]
	v_mov_b32_e32 v44, v45
	v_pk_add_f32 v[42:43], v[38:39], v[40:41] op_sel:[1,0] op_sel_hi:[0,1] neg_lo:[0,1] neg_hi:[0,1]
	v_pk_add_f32 v[50:51], v[46:47], v[42:43] op_sel_hi:[1,0] neg_lo:[0,1] neg_hi:[0,1]
	v_mov_b32_e32 v46, v47
	v_mov_b32_e32 v47, v39
	v_pk_mov_b32 v[42:43], v[40:41], v[42:43] op_sel:[1,0]
	v_mov_b32_e32 v45, v40
	v_pk_add_f32 v[42:43], v[46:47], v[42:43] neg_lo:[0,1] neg_hi:[0,1]
	v_mov_b32_e32 v50, v48
	v_pk_add_f32 v[40:41], v[44:45], v[42:43] neg_lo:[0,1] neg_hi:[0,1]
	v_mov_b32_e32 v49, v39
	v_pk_add_f32 v[42:43], v[50:51], v[40:41]
	s_mov_b32 s3, 0x33800000
	v_pk_add_f32 v[44:45], v[42:43], v[42:43] op_sel:[0,1] op_sel_hi:[1,0]
	s_nop 0
	v_pk_add_f32 v[38:39], v[38:39], v[44:45] op_sel:[1,0] op_sel_hi:[0,1]
	v_mov_b32_e32 v43, v38
	v_pk_add_f32 v[46:47], v[42:43], v[48:49] neg_lo:[0,1] neg_hi:[0,1]
	v_mov_b32_e32 v41, v44
	v_sub_f32_e32 v39, v42, v46
	v_pk_add_f32 v[40:41], v[40:41], v[46:47] neg_lo:[0,1] neg_hi:[0,1]
	v_sub_f32_e32 v39, v48, v39
	v_add_f32_e32 v39, v40, v39
	v_add_f32_e32 v39, v39, v41
	;; [unrolled: 1-line block ×3, first 2 shown]
	v_cndmask_b32_e32 v38, v52, v38, vcc
	v_cmp_gt_f32_e32 vcc, s3, v53
	s_nop 1
	v_cndmask_b32_e32 v40, v38, v53, vcc
.LBB3_8:
	s_or_b64 exec, exec, s[0:1]
	s_ashr_i32 s0, s22, 2
	s_ashr_i32 s1, s0, 31
	v_lshl_add_u64 v[32:33], s[0:1], 2, v[32:33]
	global_load_dword v32, v[32:33], off
	v_mul_f32_e32 v14, v40, v14
	s_mov_b32 s20, 0x3fb8aa3b
	v_mul_f32_e32 v15, v40, v15
	v_mul_f32_e32 v16, v40, v16
	;; [unrolled: 1-line block ×5, first 2 shown]
	s_mul_i32 s23, s21, s2
	s_mov_b32 s21, 0xc2ce8ed0
	s_mov_b32 s22, 0x42b17218
	v_mul_f32_e32 v38, 0x3fb8aa3b, v15
	v_mul_f32_e32 v39, 0x3fb8aa3b, v16
	;; [unrolled: 1-line block ×3, first 2 shown]
	v_fma_f32 v44, v14, s20, -v10
	v_mul_f32_e32 v43, 0x3fb8aa3b, v33
	v_cmp_ngt_f32_e32 vcc, s21, v14
	v_cmp_nlt_f32_e64 s[6:7], s22, v14
	v_fma_f32 v46, v15, s20, -v38
	v_fma_f32 v48, v16, s20, -v39
	;; [unrolled: 1-line block ×3, first 2 shown]
	v_fmac_f32_e32 v44, 0x32a5705f, v14
	v_rndne_f32_e32 v14, v42
	v_cmp_ngt_f32_e64 s[0:1], s21, v15
	v_cmp_ngt_f32_e64 s[2:3], s21, v16
	;; [unrolled: 1-line block ×3, first 2 shown]
	v_cmp_nlt_f32_e64 s[8:9], s22, v15
	v_cmp_nlt_f32_e64 s[10:11], s22, v16
	;; [unrolled: 1-line block ×3, first 2 shown]
	v_rndne_f32_e32 v47, v38
	v_rndne_f32_e32 v49, v39
	v_fmac_f32_e32 v46, 0x32a5705f, v15
	v_fma_f32 v15, v33, s20, -v43
	v_fmac_f32_e32 v48, 0x32a5705f, v16
	v_rndne_f32_e32 v16, v43
	v_fmac_f32_e32 v50, 0x32a5705f, v17
	v_sub_f32_e32 v17, v42, v14
	v_sub_f32_e32 v38, v38, v47
	;; [unrolled: 1-line block ×3, first 2 shown]
	v_fmac_f32_e32 v15, 0x32a5705f, v33
	v_sub_f32_e32 v42, v43, v16
	v_add_f32_e32 v17, v17, v50
	v_cvt_i32_f32_e32 v14, v14
	v_add_f32_e32 v38, v38, v46
	v_add_f32_e32 v39, v39, v48
	;; [unrolled: 1-line block ×3, first 2 shown]
	v_exp_f32_e32 v17, v17
	v_cvt_i32_f32_e32 v47, v47
	v_cvt_i32_f32_e32 v49, v49
	;; [unrolled: 1-line block ×3, first 2 shown]
	v_exp_f32_e32 v38, v38
	v_exp_f32_e32 v39, v39
	;; [unrolled: 1-line block ×3, first 2 shown]
	v_rndne_f32_e32 v45, v10
	v_sub_f32_e32 v10, v10, v45
	v_ldexp_f32 v14, v17, v14
	v_mov_b32_e32 v41, 0x7f800000
	v_cmp_ngt_f32_e64 s[14:15], s21, v33
	v_add_f32_e32 v10, v10, v44
	v_ldexp_f32 v38, v38, v47
	v_ldexp_f32 v39, v39, v49
	;; [unrolled: 1-line block ×3, first 2 shown]
	v_cndmask_b32_e64 v14, 0, v14, s[4:5]
	v_mul_f32_e32 v11, v40, v11
	v_cvt_i32_f32_e32 v45, v45
	v_exp_f32_e32 v10, v10
	v_cndmask_b32_e64 v16, 0, v38, s[0:1]
	v_cndmask_b32_e64 v17, 0, v39, s[2:3]
	;; [unrolled: 1-line block ×4, first 2 shown]
	v_mul_f32_e32 v15, 0x3fb8aa3b, v11
	v_cndmask_b32_e64 v39, v41, v16, s[8:9]
	v_cndmask_b32_e64 v42, v41, v17, s[10:11]
	v_fma_f32 v16, v11, s20, -v15
	v_rndne_f32_e32 v17, v15
	v_fmac_f32_e32 v16, 0x32a5705f, v11
	v_sub_f32_e32 v15, v15, v17
	v_add_f32_e32 v15, v15, v16
	v_ldexp_f32 v10, v10, v45
	v_exp_f32_e32 v44, v15
	v_cvt_i32_f32_e32 v45, v17
	v_mul_f32_e32 v12, v40, v12
	v_cndmask_b32_e32 v10, 0, v10, vcc
	v_cmp_nlt_f32_e32 vcc, s22, v33
	v_ldexp_f32 v33, v44, v45
	v_mul_f32_e32 v44, 0x3fb8aa3b, v12
	v_fma_f32 v45, v12, s20, -v44
	v_rndne_f32_e32 v46, v44
	v_fmac_f32_e32 v45, 0x32a5705f, v12
	v_sub_f32_e32 v44, v44, v46
	v_add_f32_e32 v44, v44, v45
	v_exp_f32_e32 v44, v44
	v_cvt_i32_f32_e32 v45, v46
	v_cndmask_b32_e64 v38, v41, v10, s[6:7]
	s_waitcnt vmcnt(0)
	v_mul_f32_e32 v10, v40, v32
	v_cndmask_b32_e32 v32, v41, v14, vcc
	v_cmp_ngt_f32_e32 vcc, s21, v11
	v_mul_f32_e32 v13, v40, v13
	v_mul_f32_e32 v6, v40, v6
	v_cndmask_b32_e32 v33, 0, v33, vcc
	v_cmp_nlt_f32_e32 vcc, s22, v11
	v_ldexp_f32 v11, v44, v45
	v_mul_f32_e32 v44, 0x3fb8aa3b, v13
	v_fma_f32 v45, v13, s20, -v44
	v_rndne_f32_e32 v46, v44
	v_fmac_f32_e32 v45, 0x32a5705f, v13
	v_sub_f32_e32 v44, v44, v46
	v_add_f32_e32 v44, v44, v45
	v_exp_f32_e32 v44, v44
	v_cvt_i32_f32_e32 v45, v46
	v_cndmask_b32_e32 v33, v41, v33, vcc
	v_cmp_ngt_f32_e32 vcc, s21, v12
	v_mul_f32_e32 v7, v40, v7
	v_mul_f32_e32 v8, v40, v8
	v_cndmask_b32_e32 v11, 0, v11, vcc
	v_cmp_nlt_f32_e32 vcc, s22, v12
	v_mul_f32_e32 v2, v40, v2
	v_mov_b32_e32 v52, 0
	v_cndmask_b32_e32 v12, v41, v11, vcc
	v_ldexp_f32 v11, v44, v45
	v_mul_f32_e32 v44, 0x3fb8aa3b, v6
	v_fma_f32 v45, v6, s20, -v44
	v_rndne_f32_e32 v46, v44
	v_fmac_f32_e32 v45, 0x32a5705f, v6
	v_sub_f32_e32 v44, v44, v46
	v_add_f32_e32 v44, v44, v45
	v_exp_f32_e32 v44, v44
	v_cvt_i32_f32_e32 v45, v46
	v_cmp_ngt_f32_e32 vcc, s21, v13
	ds_read_b128 v[14:17], v52 offset:64
	v_mul_f32_e32 v3, v40, v3
	v_cndmask_b32_e32 v11, 0, v11, vcc
	v_cmp_nlt_f32_e32 vcc, s22, v13
	v_mul_f32_e32 v4, v40, v4
	s_add_u32 s18, s18, s28
	v_cndmask_b32_e32 v13, v41, v11, vcc
	v_ldexp_f32 v11, v44, v45
	v_mul_f32_e32 v44, 0x3fb8aa3b, v7
	v_fma_f32 v45, v7, s20, -v44
	v_rndne_f32_e32 v46, v44
	v_fmac_f32_e32 v45, 0x32a5705f, v7
	v_sub_f32_e32 v44, v44, v46
	v_add_f32_e32 v44, v44, v45
	v_exp_f32_e32 v44, v44
	v_cvt_i32_f32_e32 v45, v46
	v_cmp_ngt_f32_e32 vcc, s21, v6
	s_addc_u32 s19, s19, s29
	s_mov_b32 s16, 0
	v_cndmask_b32_e32 v11, 0, v11, vcc
	v_cmp_nlt_f32_e32 vcc, s22, v6
	v_ldexp_f32 v6, v44, v45
	s_mov_b32 s17, s30
	v_cndmask_b32_e32 v46, v41, v11, vcc
	v_mul_f32_e32 v11, 0x3fb8aa3b, v8
	v_fma_f32 v44, v8, s20, -v11
	v_rndne_f32_e32 v45, v11
	v_fmac_f32_e32 v44, 0x32a5705f, v8
	v_sub_f32_e32 v11, v11, v45
	v_add_f32_e32 v11, v11, v44
	v_exp_f32_e32 v11, v11
	v_cvt_i32_f32_e32 v44, v45
	v_cmp_ngt_f32_e32 vcc, s21, v7
	s_add_u32 s18, s18, s23
	s_addc_u32 s19, s19, 0
	v_cndmask_b32_e32 v6, 0, v6, vcc
	v_cmp_nlt_f32_e32 vcc, s22, v7
	v_mul_f32_e32 v7, v40, v9
	v_mul_f32_e32 v9, 0x3fb8aa3b, v7
	v_cndmask_b32_e32 v47, v41, v6, vcc
	v_ldexp_f32 v6, v11, v44
	v_fma_f32 v11, v7, s20, -v9
	v_rndne_f32_e32 v44, v9
	v_fmac_f32_e32 v11, 0x32a5705f, v7
	v_sub_f32_e32 v9, v9, v44
	v_add_f32_e32 v9, v9, v11
	v_exp_f32_e32 v9, v9
	v_cvt_i32_f32_e32 v11, v44
	v_cmp_ngt_f32_e32 vcc, s21, v8
	v_cmp_ngt_f32_e64 s[0:1], s21, v7
	v_cmp_nlt_f32_e64 s[2:3], s22, v7
	v_cndmask_b32_e32 v44, 0, v6, vcc
	v_mul_f32_e32 v6, 0x3fb8aa3b, v2
	v_cmp_nlt_f32_e32 vcc, s22, v8
	v_ldexp_f32 v11, v9, v11
	v_fma_f32 v8, v2, s20, -v6
	v_rndne_f32_e32 v9, v6
	v_fmac_f32_e32 v8, 0x32a5705f, v2
	v_sub_f32_e32 v6, v6, v9
	v_add_f32_e32 v6, v6, v8
	v_exp_f32_e32 v45, v6
	v_cvt_i32_f32_e32 v50, v9
	ds_read_b128 v[6:9], v52
	v_cndmask_b32_e64 v11, 0, v11, s[0:1]
	v_cndmask_b32_e64 v49, v41, v11, s[2:3]
	v_ldexp_f32 v11, v45, v50
	v_cndmask_b32_e32 v48, v41, v44, vcc
	s_waitcnt lgkmcnt(0)
	v_pk_mul_f32 v[8:9], v[10:11], v[8:9] op_sel_hi:[0,1]
	v_pk_fma_f32 v[8:9], v[30:31], v[42:43], v[8:9]
	v_mul_f32_e32 v30, 0x3fb8aa3b, v3
	v_fma_f32 v31, v3, s20, -v30
	v_rndne_f32_e32 v42, v30
	v_fmac_f32_e32 v31, 0x32a5705f, v3
	v_sub_f32_e32 v30, v30, v42
	v_add_f32_e32 v30, v30, v31
	v_exp_f32_e32 v30, v30
	v_cvt_i32_f32_e32 v31, v42
	v_cmp_ngt_f32_e32 vcc, s21, v2
	v_pk_mul_f32 v[6:7], v[10:11], v[6:7] op_sel_hi:[0,1]
	v_pk_fma_f32 v[6:7], v[36:37], v[38:39], v[6:7]
	v_cndmask_b32_e32 v11, 0, v11, vcc
	v_cmp_nlt_f32_e32 vcc, s22, v2
	v_ldexp_f32 v2, v30, v31
	ds_read_b128 v[36:39], v52 offset:80
	v_cndmask_b32_e32 v50, v41, v11, vcc
	v_mul_f32_e32 v11, 0x3fb8aa3b, v4
	v_fma_f32 v30, v4, s20, -v11
	v_rndne_f32_e32 v31, v11
	v_fmac_f32_e32 v30, 0x32a5705f, v4
	v_sub_f32_e32 v11, v11, v31
	v_add_f32_e32 v11, v11, v30
	v_exp_f32_e32 v11, v11
	v_cvt_i32_f32_e32 v30, v31
	v_cmp_ngt_f32_e32 vcc, s21, v3
	v_fma_f32 v53, v14, v6, 0
	v_fmac_f32_e32 v53, v15, v7
	v_cndmask_b32_e32 v2, 0, v2, vcc
	v_cmp_nlt_f32_e32 vcc, s22, v3
	v_fmac_f32_e32 v53, v16, v8
	ds_read_b128 v[42:45], v52 offset:96
	v_cndmask_b32_e32 v51, v41, v2, vcc
	v_ldexp_f32 v2, v11, v30
	v_mul_f32_e32 v11, v40, v5
	v_mul_f32_e32 v3, 0x3fb8aa3b, v11
	v_fma_f32 v5, v11, s20, -v3
	v_rndne_f32_e32 v30, v3
	v_fmac_f32_e32 v5, 0x32a5705f, v11
	v_sub_f32_e32 v3, v3, v30
	v_add_f32_e32 v3, v3, v5
	v_exp_f32_e32 v3, v3
	v_cvt_i32_f32_e32 v5, v30
	v_cmp_ngt_f32_e32 vcc, s21, v4
	v_cmp_ngt_f32_e64 s[0:1], s21, v11
	v_cmp_nlt_f32_e64 s[2:3], s22, v11
	v_cndmask_b32_e32 v30, 0, v2, vcc
	v_cmp_nlt_f32_e32 vcc, s22, v4
	v_ldexp_f32 v31, v3, v5
	ds_read_b128 v[2:5], v52 offset:16
	v_cndmask_b32_e64 v11, 0, v31, s[0:1]
	s_ashr_i64 s[0:1], s[16:17], 30
	v_fmac_f32_e32 v53, v17, v9
	v_cndmask_b32_e32 v40, v41, v30, vcc
	s_waitcnt lgkmcnt(0)
	v_pk_mul_f32 v[2:3], v[10:11], v[2:3] op_sel_hi:[0,1]
	v_pk_fma_f32 v[0:1], v[0:1], v[32:33], v[2:3]
	v_pk_mul_f32 v[2:3], v[10:11], v[4:5] op_sel_hi:[0,1]
	v_lshl_add_u64 v[4:5], v[28:29], 0, s[0:1]
	v_pk_fma_f32 v[2:3], v[26:27], v[12:13], v[2:3]
	ds_read_b128 v[26:29], v52 offset:32
	ds_read_b128 v[12:15], v52 offset:48
	v_fmac_f32_e32 v53, v36, v0
	v_fmac_f32_e32 v53, v37, v1
	;; [unrolled: 1-line block ×3, first 2 shown]
	s_waitcnt lgkmcnt(1)
	v_pk_mul_f32 v[16:17], v[10:11], v[26:27] op_sel_hi:[0,1]
	ds_read_b128 v[30:33], v52 offset:112
	v_fmac_f32_e32 v53, v39, v3
	v_pk_fma_f32 v[22:23], v[22:23], v[46:47], v[16:17]
	v_pk_mul_f32 v[16:17], v[10:11], v[28:29] op_sel_hi:[0,1]
	v_fmac_f32_e32 v53, v42, v22
	v_fmac_f32_e32 v53, v43, v23
	v_pk_fma_f32 v[24:25], v[24:25], v[48:49], v[16:17]
	s_waitcnt lgkmcnt(1)
	v_pk_mul_f32 v[12:13], v[10:11], v[12:13] op_sel_hi:[0,1]
	v_fmac_f32_e32 v53, v44, v24
	v_fmac_f32_e32 v53, v45, v25
	v_pk_fma_f32 v[12:13], v[18:19], v[50:51], v[12:13]
	v_cndmask_b32_e64 v41, v41, v11, s[2:3]
	s_waitcnt lgkmcnt(0)
	v_fmac_f32_e32 v53, v30, v12
	v_pk_mul_f32 v[10:11], v[10:11], v[14:15] op_sel_hi:[0,1]
	s_add_u32 s0, s18, s40
	v_fmac_f32_e32 v53, v31, v13
	v_pk_fma_f32 v[14:15], v[20:21], v[40:41], v[10:11]
	s_addc_u32 s1, s19, s33
	v_fmac_f32_e32 v53, v32, v14
	v_lshl_add_u64 v[34:35], v[34:35], 2, s[0:1]
	v_fmac_f32_e32 v53, v33, v15
	global_store_dword v[4:5], v53, off
	s_barrier
	global_store_dwordx4 v[34:35], v[6:9], off
	global_store_dwordx4 v[34:35], v[0:3], off offset:16
	global_store_dwordx4 v[34:35], v[22:25], off offset:32
	;; [unrolled: 1-line block ×3, first 2 shown]
	s_endpgm
	.section	.rodata,"a",@progbits
	.p2align	6, 0x0
	.amdhsa_kernel _Z12ssm_scan_f32ILm128ELm16ELm2EEvPKfS1_S1_S1_S1_S1_PKiPfiiiiiiiiiiilll
		.amdhsa_group_segment_fixed_size 128
		.amdhsa_private_segment_fixed_size 0
		.amdhsa_kernarg_size 136
		.amdhsa_user_sgpr_count 2
		.amdhsa_user_sgpr_dispatch_ptr 0
		.amdhsa_user_sgpr_queue_ptr 0
		.amdhsa_user_sgpr_kernarg_segment_ptr 1
		.amdhsa_user_sgpr_dispatch_id 0
		.amdhsa_user_sgpr_kernarg_preload_length 0
		.amdhsa_user_sgpr_kernarg_preload_offset 0
		.amdhsa_user_sgpr_private_segment_size 0
		.amdhsa_uses_dynamic_stack 0
		.amdhsa_enable_private_segment 0
		.amdhsa_system_sgpr_workgroup_id_x 1
		.amdhsa_system_sgpr_workgroup_id_y 1
		.amdhsa_system_sgpr_workgroup_id_z 0
		.amdhsa_system_sgpr_workgroup_info 0
		.amdhsa_system_vgpr_workitem_id 0
		.amdhsa_next_free_vgpr 62
		.amdhsa_next_free_sgpr 41
		.amdhsa_accum_offset 64
		.amdhsa_reserve_vcc 1
		.amdhsa_float_round_mode_32 0
		.amdhsa_float_round_mode_16_64 0
		.amdhsa_float_denorm_mode_32 3
		.amdhsa_float_denorm_mode_16_64 3
		.amdhsa_dx10_clamp 1
		.amdhsa_ieee_mode 1
		.amdhsa_fp16_overflow 0
		.amdhsa_tg_split 0
		.amdhsa_exception_fp_ieee_invalid_op 0
		.amdhsa_exception_fp_denorm_src 0
		.amdhsa_exception_fp_ieee_div_zero 0
		.amdhsa_exception_fp_ieee_overflow 0
		.amdhsa_exception_fp_ieee_underflow 0
		.amdhsa_exception_fp_ieee_inexact 0
		.amdhsa_exception_int_div_zero 0
	.end_amdhsa_kernel
	.section	.text._Z12ssm_scan_f32ILm128ELm16ELm2EEvPKfS1_S1_S1_S1_S1_PKiPfiiiiiiiiiiilll,"axG",@progbits,_Z12ssm_scan_f32ILm128ELm16ELm2EEvPKfS1_S1_S1_S1_S1_PKiPfiiiiiiiiiiilll,comdat
.Lfunc_end3:
	.size	_Z12ssm_scan_f32ILm128ELm16ELm2EEvPKfS1_S1_S1_S1_S1_PKiPfiiiiiiiiiiilll, .Lfunc_end3-_Z12ssm_scan_f32ILm128ELm16ELm2EEvPKfS1_S1_S1_S1_S1_PKiPfiiiiiiiiiiilll
                                        ; -- End function
	.set _Z12ssm_scan_f32ILm128ELm16ELm2EEvPKfS1_S1_S1_S1_S1_PKiPfiiiiiiiiiiilll.num_vgpr, 62
	.set _Z12ssm_scan_f32ILm128ELm16ELm2EEvPKfS1_S1_S1_S1_S1_PKiPfiiiiiiiiiiilll.num_agpr, 0
	.set _Z12ssm_scan_f32ILm128ELm16ELm2EEvPKfS1_S1_S1_S1_S1_PKiPfiiiiiiiiiiilll.numbered_sgpr, 41
	.set _Z12ssm_scan_f32ILm128ELm16ELm2EEvPKfS1_S1_S1_S1_S1_PKiPfiiiiiiiiiiilll.num_named_barrier, 0
	.set _Z12ssm_scan_f32ILm128ELm16ELm2EEvPKfS1_S1_S1_S1_S1_PKiPfiiiiiiiiiiilll.private_seg_size, 0
	.set _Z12ssm_scan_f32ILm128ELm16ELm2EEvPKfS1_S1_S1_S1_S1_PKiPfiiiiiiiiiiilll.uses_vcc, 1
	.set _Z12ssm_scan_f32ILm128ELm16ELm2EEvPKfS1_S1_S1_S1_S1_PKiPfiiiiiiiiiiilll.uses_flat_scratch, 0
	.set _Z12ssm_scan_f32ILm128ELm16ELm2EEvPKfS1_S1_S1_S1_S1_PKiPfiiiiiiiiiiilll.has_dyn_sized_stack, 0
	.set _Z12ssm_scan_f32ILm128ELm16ELm2EEvPKfS1_S1_S1_S1_S1_PKiPfiiiiiiiiiiilll.has_recursion, 0
	.set _Z12ssm_scan_f32ILm128ELm16ELm2EEvPKfS1_S1_S1_S1_S1_PKiPfiiiiiiiiiiilll.has_indirect_call, 0
	.section	.AMDGPU.csdata,"",@progbits
; Kernel info:
; codeLenInByte = 5716
; TotalNumSgprs: 47
; NumVgprs: 62
; NumAgprs: 0
; TotalNumVgprs: 62
; ScratchSize: 0
; MemoryBound: 0
; FloatMode: 240
; IeeeMode: 1
; LDSByteSize: 128 bytes/workgroup (compile time only)
; SGPRBlocks: 5
; VGPRBlocks: 7
; NumSGPRsForWavesPerEU: 47
; NumVGPRsForWavesPerEU: 62
; AccumOffset: 64
; Occupancy: 8
; WaveLimiterHint : 1
; COMPUTE_PGM_RSRC2:SCRATCH_EN: 0
; COMPUTE_PGM_RSRC2:USER_SGPR: 2
; COMPUTE_PGM_RSRC2:TRAP_HANDLER: 0
; COMPUTE_PGM_RSRC2:TGID_X_EN: 1
; COMPUTE_PGM_RSRC2:TGID_Y_EN: 1
; COMPUTE_PGM_RSRC2:TGID_Z_EN: 0
; COMPUTE_PGM_RSRC2:TIDIG_COMP_CNT: 0
; COMPUTE_PGM_RSRC3_GFX90A:ACCUM_OFFSET: 15
; COMPUTE_PGM_RSRC3_GFX90A:TG_SPLIT: 0
	.section	.text._Z12ssm_scan_f32ILm128ELm16ELm3EEvPKfS1_S1_S1_S1_S1_PKiPfiiiiiiiiiiilll,"axG",@progbits,_Z12ssm_scan_f32ILm128ELm16ELm3EEvPKfS1_S1_S1_S1_S1_PKiPfiiiiiiiiiiilll,comdat
	.protected	_Z12ssm_scan_f32ILm128ELm16ELm3EEvPKfS1_S1_S1_S1_S1_PKiPfiiiiiiiiiiilll ; -- Begin function _Z12ssm_scan_f32ILm128ELm16ELm3EEvPKfS1_S1_S1_S1_S1_PKiPfiiiiiiiiiiilll
	.globl	_Z12ssm_scan_f32ILm128ELm16ELm3EEvPKfS1_S1_S1_S1_S1_PKiPfiiiiiiiiiiilll
	.p2align	8
	.type	_Z12ssm_scan_f32ILm128ELm16ELm3EEvPKfS1_S1_S1_S1_S1_PKiPfiiiiiiiiiiilll,@function
_Z12ssm_scan_f32ILm128ELm16ELm3EEvPKfS1_S1_S1_S1_S1_PKiPfiiiiiiiiiiilll: ; @_Z12ssm_scan_f32ILm128ELm16ELm3EEvPKfS1_S1_S1_S1_S1_PKiPfiiiiiiiiiiilll
; %bb.0:
	s_load_dwordx16 s[4:19], s[0:1], 0x0
	s_load_dwordx8 s[20:27], s[0:1], 0x40
	s_mov_b32 s34, s3
	s_mov_b32 s3, 0
	s_lshl_b64 s[28:29], s[2:3], 2
	s_waitcnt lgkmcnt(0)
	s_add_u32 s16, s16, s28
	s_addc_u32 s17, s17, s29
	s_load_dword s16, s[16:17], 0x0
	v_mov_b32_e32 v35, 0
	s_mov_b32 s35, s3
	v_cmp_gt_u32_e32 vcc, 16, v0
	v_mov_b32_e32 v1, v35
	s_waitcnt lgkmcnt(0)
	s_mul_i32 s16, s16, s21
	s_ashr_i32 s17, s16, 31
	s_add_u32 s4, s4, s16
	s_addc_u32 s5, s5, s17
	s_lshl_b32 s16, s34, 7
	s_ashr_i32 s17, s20, 31
	s_mul_i32 s17, s16, s17
	s_mul_hi_u32 s28, s16, s20
	s_add_i32 s17, s28, s17
	s_lshr_b32 s28, s34, 25
	s_mul_i32 s29, s28, s20
	s_add_i32 s33, s17, s29
	s_mul_i32 s36, s16, s20
	s_add_u32 s4, s4, s36
	s_addc_u32 s5, s5, s33
	s_ashr_i32 s17, s26, 31
	s_mul_i32 s17, s16, s17
	s_mul_hi_u32 s29, s16, s26
	s_add_i32 s17, s29, s17
	s_mul_i32 s28, s28, s26
	s_add_i32 s17, s17, s28
	s_mul_i32 s16, s16, s26
	s_add_u32 s10, s10, s16
	s_addc_u32 s11, s11, s17
	s_ashr_i32 s17, s26, 2
	s_ashr_i32 s16, s20, 2
	v_mul_lo_u32 v34, s17, v0
	v_lshl_add_u64 v[36:37], v[34:35], 2, s[10:11]
	v_mul_lo_u32 v34, s16, v0
	v_lshl_add_u64 v[38:39], v[34:35], 2, s[4:5]
	global_load_dwordx4 v[2:5], v[36:37], off offset:48
	global_load_dwordx4 v[6:9], v[36:37], off offset:32
	;; [unrolled: 1-line block ×3, first 2 shown]
	global_load_dwordx4 v[14:17], v[36:37], off
	global_load_dwordx4 v[18:21], v[38:39], off offset:48
	global_load_dwordx4 v[22:25], v[38:39], off offset:32
	;; [unrolled: 1-line block ×3, first 2 shown]
	global_load_dwordx4 v[30:33], v[38:39], off
	s_load_dwordx4 s[28:31], s[0:1], 0x60
	v_lshlrev_b32_e32 v0, 2, v0
	v_add_u32_e32 v59, 64, v0
	s_waitcnt lgkmcnt(0)
	s_mul_i32 s3, s28, s2
	s_add_u32 s4, s12, s3
	s_mul_i32 s10, s30, s2
	s_addc_u32 s5, s13, 0
	s_add_u32 s10, s14, s10
	s_addc_u32 s11, s15, 0
	v_lshl_add_u64 v[38:39], s[4:5], 0, v[0:1]
	v_lshl_add_u64 v[36:37], s[10:11], 0, v[0:1]
	s_and_saveexec_b64 s[4:5], vcc
	s_cbranch_execz .LBB4_2
; %bb.1:
	global_load_dword v40, v[38:39], off
	global_load_dword v41, v[36:37], off
	s_waitcnt vmcnt(1)
	ds_write_b32 v0, v40
	s_waitcnt vmcnt(0)
	ds_write_b32 v59, v41
.LBB4_2:
	s_or_b64 exec, exec, s[4:5]
	s_lshl_b64 s[12:13], s[34:35], 9
	s_mul_i32 s3, s25, s2
	s_add_u32 s3, s8, s3
	s_addc_u32 s4, s9, 0
	s_add_u32 s14, s3, s12
	s_addc_u32 s15, s4, s13
	s_waitcnt lgkmcnt(0)
	s_barrier
	global_load_dword v57, v0, s[14:15]
	s_mov_b32 s3, 0x41a00000
	s_waitcnt vmcnt(0)
	v_cmp_ge_f32_e64 s[4:5], s3, v57
	s_and_saveexec_b64 s[8:9], s[4:5]
	s_cbranch_execz .LBB4_4
; %bb.3:
	v_mul_f32_e32 v40, 0x3fb8aa3b, v57
	s_mov_b32 s3, 0x3fb8aa3b
	v_rndne_f32_e32 v41, v40
	v_sub_f32_e32 v42, v40, v41
	v_fma_f32 v40, v57, s3, -v40
	v_fmamk_f32 v40, v57, 0x32a5705f, v40
	v_add_f32_e32 v40, v42, v40
	v_exp_f32_e32 v40, v40
	v_cvt_i32_f32_e32 v41, v41
	s_mov_b32 s3, 0xc2ce8ed0
	v_cmp_ngt_f32_e64 s[4:5], s3, v57
	s_mov_b32 s3, 0x42b17218
	v_ldexp_f32 v40, v40, v41
	v_cndmask_b32_e64 v40, 0, v40, s[4:5]
	v_mov_b32_e32 v54, 0x7f800000
	v_cmp_nlt_f32_e64 s[4:5], s3, v57
	s_mov_b32 s3, 0x3f2aaaab
	s_mov_b32 s10, 0x7f800000
	v_cndmask_b32_e64 v55, v54, v40, s[4:5]
	v_add_f32_e32 v42, 1.0, v55
	v_add_f32_e32 v40, -1.0, v42
	v_sub_f32_e32 v41, v40, v42
	v_add_f32_e32 v41, 1.0, v41
	v_sub_f32_e32 v40, v55, v40
	v_add_f32_e32 v43, v40, v41
	v_frexp_mant_f32_e32 v44, v42
	v_cvt_f64_f32_e32 v[40:41], v42
	v_frexp_exp_i32_f64_e32 v40, v[40:41]
	v_cmp_gt_f32_e64 s[4:5], s3, v44
	s_mov_b32 s3, 0x3f317218
	s_nop 0
	v_subbrev_co_u32_e64 v48, s[4:5], 0, v40, s[4:5]
	v_sub_u32_e32 v40, 0, v48
	v_ldexp_f32 v41, v42, v40
	v_add_f32_e32 v42, -1.0, v41
	v_add_f32_e32 v44, 1.0, v41
	v_ldexp_f32 v40, v43, v40
	v_add_f32_e32 v43, 1.0, v42
	v_add_f32_e32 v45, -1.0, v44
	v_sub_f32_e32 v43, v41, v43
	v_sub_f32_e32 v41, v41, v45
	v_add_f32_e32 v43, v40, v43
	v_add_f32_e32 v40, v40, v41
	;; [unrolled: 1-line block ×3, first 2 shown]
	v_rcp_f32_e32 v51, v49
	v_sub_f32_e32 v41, v44, v49
	v_add_f32_e32 v50, v40, v41
	v_add_f32_e32 v41, v42, v43
	v_mul_f32_e32 v53, v41, v51
	v_sub_f32_e32 v40, v42, v41
	v_mul_f32_e32 v42, v49, v53
	v_fma_f32 v44, v53, v49, -v42
	v_fmac_f32_e32 v44, v53, v50
	v_add_f32_e32 v52, v43, v40
	v_add_f32_e32 v40, v42, v44
	v_sub_f32_e32 v43, v41, v40
	v_pk_add_f32 v[46:47], v[40:41], v[42:43] neg_lo:[0,1] neg_hi:[0,1]
	v_mov_b32_e32 v45, v40
	v_pk_add_f32 v[40:41], v[46:47], v[44:45] neg_lo:[0,1] neg_hi:[0,1]
	v_cmp_neq_f32_e64 s[4:5], s10, v55
	v_add_f32_e32 v41, v52, v41
	v_add_f32_e32 v40, v40, v41
	;; [unrolled: 1-line block ×3, first 2 shown]
	v_mul_f32_e32 v52, v51, v41
	v_mul_f32_e32 v42, v49, v52
	v_fma_f32 v44, v52, v49, -v42
	v_fmac_f32_e32 v44, v52, v50
	v_sub_f32_e32 v43, v43, v41
	v_add_f32_e32 v49, v40, v43
	v_add_f32_e32 v40, v42, v44
	v_sub_f32_e32 v43, v41, v40
	v_pk_add_f32 v[46:47], v[40:41], v[42:43] neg_lo:[0,1] neg_hi:[0,1]
	v_mov_b32_e32 v45, v40
	v_pk_add_f32 v[40:41], v[46:47], v[44:45] neg_lo:[0,1] neg_hi:[0,1]
	v_cvt_f32_i32_e32 v42, v48
	v_add_f32_e32 v41, v49, v41
	v_add_f32_e32 v40, v40, v41
	;; [unrolled: 1-line block ×4, first 2 shown]
	v_sub_f32_e32 v41, v43, v53
	v_mul_f32_e32 v40, v51, v40
	v_sub_f32_e32 v41, v52, v41
	v_add_f32_e32 v40, v41, v40
	v_add_f32_e32 v44, v43, v40
	v_mul_f32_e32 v46, v44, v44
	v_mov_b32_e32 v41, 0x3ecc95a3
	v_sub_f32_e32 v43, v44, v43
	v_fmac_f32_e32 v41, 0x3e9b6dac, v46
	v_sub_f32_e32 v40, v40, v43
	v_fmaak_f32 v41, v46, v41, 0x3f2aaada
	v_ldexp_f32 v47, v40, 1
	v_mul_f32_e32 v43, v44, v46
	v_mov_b32_e32 v40, 0x3f317218
	v_pk_mul_f32 v[40:41], v[42:43], v[40:41]
	v_ldexp_f32 v45, v44, 1
	v_fma_f32 v43, v42, s3, -v40
	v_fmamk_f32 v44, v42, 0xb102e308, v43
	v_pk_add_f32 v[42:43], v[40:41], v[44:45]
	v_mov_b32_e32 v46, v40
	v_sub_f32_e32 v45, v43, v45
	v_sub_f32_e32 v45, v41, v45
	v_add_f32_e32 v47, v47, v45
	v_pk_add_f32 v[40:41], v[42:43], v[40:41] neg_lo:[0,1] neg_hi:[0,1]
	v_pk_add_f32 v[48:49], v[42:43], v[46:47]
	v_mov_b32_e32 v45, v42
	v_mov_b32_e32 v41, v49
	v_pk_add_f32 v[50:51], v[44:45], v[40:41] neg_lo:[0,1] neg_hi:[0,1]
	v_pk_add_f32 v[40:41], v[44:45], v[40:41]
	v_mov_b32_e32 v46, v47
	v_pk_add_f32 v[44:45], v[40:41], v[42:43] op_sel:[1,0] op_sel_hi:[0,1] neg_lo:[0,1] neg_hi:[0,1]
	v_pk_add_f32 v[52:53], v[48:49], v[44:45] op_sel_hi:[1,0] neg_lo:[0,1] neg_hi:[0,1]
	v_mov_b32_e32 v48, v49
	v_mov_b32_e32 v49, v41
	v_pk_mov_b32 v[44:45], v[42:43], v[44:45] op_sel:[1,0]
	v_mov_b32_e32 v47, v42
	v_pk_add_f32 v[44:45], v[48:49], v[44:45] neg_lo:[0,1] neg_hi:[0,1]
	v_mov_b32_e32 v52, v50
	v_pk_add_f32 v[42:43], v[46:47], v[44:45] neg_lo:[0,1] neg_hi:[0,1]
	v_mov_b32_e32 v51, v41
	v_pk_add_f32 v[44:45], v[52:53], v[42:43]
	s_mov_b32 s3, 0x33800000
	v_pk_add_f32 v[46:47], v[44:45], v[44:45] op_sel:[0,1] op_sel_hi:[1,0]
	s_nop 0
	v_pk_add_f32 v[40:41], v[40:41], v[46:47] op_sel:[1,0] op_sel_hi:[0,1]
	v_mov_b32_e32 v45, v40
	v_pk_add_f32 v[48:49], v[44:45], v[50:51] neg_lo:[0,1] neg_hi:[0,1]
	v_mov_b32_e32 v43, v46
	v_sub_f32_e32 v41, v44, v48
	v_pk_add_f32 v[42:43], v[42:43], v[48:49] neg_lo:[0,1] neg_hi:[0,1]
	v_sub_f32_e32 v41, v50, v41
	v_add_f32_e32 v41, v42, v41
	v_add_f32_e32 v41, v41, v43
	v_add_f32_e32 v40, v40, v41
	v_cndmask_b32_e64 v40, v54, v40, s[4:5]
	v_cmp_gt_f32_e64 s[4:5], s3, v55
	s_nop 1
	v_cndmask_b32_e64 v57, v40, v55, s[4:5]
.LBB4_4:
	s_or_b64 exec, exec, s[8:9]
	s_load_dwordx4 s[8:11], s[0:1], 0x70
	s_mul_i32 s0, s23, s2
	v_mul_f32_e32 v48, v57, v14
	v_lshl_add_u64 v[54:55], s[14:15], 0, v[0:1]
	s_mov_b32 s14, 0x3fb8aa3b
	s_waitcnt lgkmcnt(0)
	s_mul_i32 s1, s2, s11
	s_mul_hi_u32 s3, s2, s10
	s_mul_i32 s4, s2, s10
	s_add_i32 s1, s3, s1
	s_mul_hi_u32 s3, s4, 12
	s_mul_i32 s1, s1, 12
	s_add_i32 s3, s3, s1
	s_mul_i32 s4, s4, 12
	s_add_u32 s5, s18, s4
	s_addc_u32 s17, s19, s3
	s_ashr_i32 s4, s27, 2
	s_add_u32 s0, s6, s0
	s_addc_u32 s1, s7, 0
	s_add_u32 s6, s0, s12
	s_addc_u32 s7, s1, s13
	global_load_dword v52, v0, s[6:7]
	v_mul_f32_e32 v49, v57, v15
	v_mul_f32_e32 v56, 0x3fb8aa3b, v48
	;; [unrolled: 1-line block ×5, first 2 shown]
	v_fma_f32 v64, v48, s14, -v56
	v_rndne_f32_e32 v65, v56
	v_mul_f32_e32 v61, 0x3fb8aa3b, v50
	v_mul_f32_e32 v62, 0x3fb8aa3b, v51
	v_fma_f32 v66, v49, s14, -v60
	v_rndne_f32_e32 v67, v60
	v_fmac_f32_e32 v64, 0x32a5705f, v48
	v_sub_f32_e32 v56, v56, v65
	v_fma_f32 v68, v50, s14, -v61
	v_rndne_f32_e32 v69, v61
	v_fma_f32 v70, v51, s14, -v62
	v_rndne_f32_e32 v71, v62
	v_fmac_f32_e32 v66, 0x32a5705f, v49
	v_sub_f32_e32 v60, v60, v67
	v_add_f32_e32 v56, v56, v64
	v_fmac_f32_e32 v68, 0x32a5705f, v50
	v_sub_f32_e32 v61, v61, v69
	v_fmac_f32_e32 v70, 0x32a5705f, v51
	v_sub_f32_e32 v62, v62, v71
	v_cvt_i32_f32_e32 v65, v65
	v_add_f32_e32 v60, v60, v66
	v_exp_f32_e32 v56, v56
	v_cvt_i32_f32_e32 v67, v67
	v_add_f32_e32 v68, v61, v68
	v_exp_f32_e32 v60, v60
	v_add_f32_e32 v70, v62, v70
	v_cvt_i32_f32_e32 v69, v69
	v_cvt_i32_f32_e32 v71, v71
	v_exp_f32_e32 v68, v68
	v_exp_f32_e32 v70, v70
	s_mov_b32 s3, 0xc2ce8ed0
	v_ldexp_f32 v56, v56, v65
	v_cmp_ngt_f32_e64 s[0:1], s3, v48
	v_ldexp_f32 v74, v60, v67
	v_mov_b32_e32 v1, 0
	v_cndmask_b32_e64 v56, 0, v56, s[0:1]
	v_cmp_ngt_f32_e64 s[0:1], s3, v49
	v_ldexp_f32 v68, v68, v69
	v_ldexp_f32 v69, v70, v71
	v_cndmask_b32_e64 v70, 0, v74, s[0:1]
	v_cmp_ngt_f32_e64 s[0:1], s3, v50
	s_mov_b32 s11, 0x42b17218
	ds_read_b128 v[40:43], v1
	ds_read_b128 v[44:47], v1 offset:16
	v_cndmask_b32_e64 v68, 0, v68, s[0:1]
	v_cmp_ngt_f32_e64 s[0:1], s3, v51
	v_mov_b32_e32 v58, 0x7f800000
	v_mul_f32_e32 v53, v57, v10
	v_cndmask_b32_e64 v69, 0, v69, s[0:1]
	v_cmp_nlt_f32_e64 s[0:1], s11, v48
	v_mul_f32_e32 v63, 0x3fb8aa3b, v53
	v_fma_f32 v72, v53, s14, -v63
	v_cndmask_b32_e64 v48, v58, v56, s[0:1]
	v_cmp_nlt_f32_e64 s[0:1], s11, v49
	v_rndne_f32_e32 v73, v63
	v_fmac_f32_e32 v72, 0x32a5705f, v53
	v_cndmask_b32_e64 v49, v58, v70, s[0:1]
	v_cmp_nlt_f32_e64 s[0:1], s11, v50
	v_sub_f32_e32 v63, v63, v73
	v_add_f32_e32 v72, v63, v72
	v_cndmask_b32_e64 v50, v58, v68, s[0:1]
	v_cmp_nlt_f32_e64 s[0:1], s11, v51
	v_cvt_i32_f32_e32 v73, v73
	v_exp_f32_e32 v72, v72
	v_cndmask_b32_e64 v51, v58, v69, s[0:1]
	v_cmp_ngt_f32_e64 s[0:1], s3, v53
	ds_read_b128 v[60:63], v1 offset:64
	ds_read_b128 v[64:67], v1 offset:80
	s_add_u32 s16, s5, s12
	s_addc_u32 s17, s17, s13
	s_ashr_i32 s12, s29, 2
	s_ashr_i32 s5, s4, 31
	;; [unrolled: 1-line block ×3, first 2 shown]
	s_waitcnt vmcnt(0)
	v_mul_f32_e32 v56, v57, v52
	s_waitcnt lgkmcnt(3)
	v_pk_mul_f32 v[40:41], v[56:57], v[40:41] op_sel_hi:[0,1]
	v_pk_mul_f32 v[42:43], v[56:57], v[42:43] op_sel_hi:[0,1]
	v_pk_fma_f32 v[48:49], v[30:31], v[48:49], v[40:41]
	v_mul_f32_e32 v31, v57, v11
	v_pk_fma_f32 v[50:51], v[32:33], v[50:51], v[42:43]
	v_mul_f32_e32 v32, 0x3fb8aa3b, v31
	v_fma_f32 v33, v31, s14, -v32
	v_rndne_f32_e32 v41, v32
	v_fmac_f32_e32 v33, 0x32a5705f, v31
	v_sub_f32_e32 v32, v32, v41
	v_add_f32_e32 v32, v32, v33
	v_exp_f32_e32 v32, v32
	v_cvt_i32_f32_e32 v33, v41
	v_ldexp_f32 v30, v72, v73
	v_cndmask_b32_e64 v30, 0, v30, s[0:1]
	v_cmp_nlt_f32_e64 s[0:1], s11, v53
	v_ldexp_f32 v32, v32, v33
	v_mul_f32_e32 v41, v57, v12
	v_cndmask_b32_e64 v30, v58, v30, s[0:1]
	v_cmp_ngt_f32_e64 s[0:1], s3, v31
	s_waitcnt lgkmcnt(1)
	v_fma_f32 v40, v60, v48, 0
	v_mul_f32_e32 v60, v57, v13
	v_cndmask_b32_e64 v32, 0, v32, s[0:1]
	v_cmp_nlt_f32_e64 s[0:1], s11, v31
	v_fmac_f32_e32 v40, v61, v49
	v_fmac_f32_e32 v40, v62, v50
	v_cndmask_b32_e64 v31, v58, v32, s[0:1]
	v_pk_mul_f32 v[32:33], v[56:57], v[44:45] op_sel_hi:[0,1]
	v_pk_fma_f32 v[52:53], v[26:27], v[30:31], v[32:33]
	v_mul_f32_e32 v30, 0x3fb8aa3b, v41
	v_fma_f32 v31, v41, s14, -v30
	v_rndne_f32_e32 v32, v30
	v_fmac_f32_e32 v31, 0x32a5705f, v41
	v_sub_f32_e32 v30, v30, v32
	v_add_f32_e32 v30, v30, v31
	v_cvt_i32_f32_e32 v31, v32
	v_mul_f32_e32 v32, 0x3fb8aa3b, v60
	v_fma_f32 v33, v60, s14, -v32
	v_rndne_f32_e32 v42, v32
	v_fmac_f32_e32 v33, 0x32a5705f, v60
	v_sub_f32_e32 v32, v32, v42
	v_add_f32_e32 v32, v32, v33
	v_exp_f32_e32 v32, v32
	v_cvt_i32_f32_e32 v33, v42
	v_exp_f32_e32 v30, v30
	v_fmac_f32_e32 v40, v63, v51
	s_waitcnt lgkmcnt(0)
	v_pk_mul_f32 v[26:27], v[64:65], v[52:53]
	v_cmp_ngt_f32_e64 s[0:1], s3, v60
	v_add_f32_e32 v26, v40, v26
	v_add_f32_e32 v61, v26, v27
	v_ldexp_f32 v26, v32, v33
	v_ldexp_f32 v40, v30, v31
	v_cndmask_b32_e64 v62, 0, v26, s[0:1]
	v_cmp_ngt_f32_e64 s[0:1], s3, v41
	v_pk_mul_f32 v[26:27], v[56:57], v[46:47] op_sel_hi:[0,1]
	v_mul_f32_e32 v47, v57, v7
	v_cndmask_b32_e64 v40, 0, v40, s[0:1]
	v_cmp_nlt_f32_e64 s[0:1], s11, v41
	ds_read_b128 v[42:45], v1 offset:32
	ds_read_b128 v[30:33], v1 offset:48
	v_cndmask_b32_e64 v40, v58, v40, s[0:1]
	v_cmp_nlt_f32_e64 s[0:1], s11, v60
	s_waitcnt lgkmcnt(1)
	v_pk_mul_f32 v[42:43], v[56:57], v[42:43] op_sel_hi:[0,1]
	v_cndmask_b32_e64 v41, v58, v62, s[0:1]
	v_pk_fma_f32 v[40:41], v[28:29], v[40:41], v[26:27]
	v_mul_f32_e32 v28, v57, v6
	v_mul_f32_e32 v26, 0x3fb8aa3b, v28
	v_fma_f32 v27, v28, s14, -v26
	v_rndne_f32_e32 v29, v26
	v_fmac_f32_e32 v27, 0x32a5705f, v28
	v_sub_f32_e32 v26, v26, v29
	v_add_f32_e32 v26, v26, v27
	v_exp_f32_e32 v46, v26
	v_cvt_i32_f32_e32 v29, v29
	v_pk_mul_f32 v[26:27], v[66:67], v[40:41]
	v_cmp_ngt_f32_e64 s[0:1], s3, v28
	v_add_f32_e32 v26, v61, v26
	v_add_f32_e32 v64, v26, v27
	v_mul_f32_e32 v27, 0x3fb8aa3b, v47
	v_ldexp_f32 v26, v46, v29
	v_fma_f32 v29, v47, s14, -v27
	v_rndne_f32_e32 v46, v27
	v_fmac_f32_e32 v29, 0x32a5705f, v47
	v_sub_f32_e32 v27, v27, v46
	v_add_f32_e32 v27, v27, v29
	v_exp_f32_e32 v27, v27
	v_cvt_i32_f32_e32 v29, v46
	v_cndmask_b32_e64 v26, 0, v26, s[0:1]
	v_cmp_nlt_f32_e64 s[0:1], s11, v28
	s_nop 1
	v_cndmask_b32_e64 v46, v58, v26, s[0:1]
	v_ldexp_f32 v26, v27, v29
	v_cmp_ngt_f32_e64 s[0:1], s3, v47
	s_nop 1
	v_cndmask_b32_e64 v60, 0, v26, s[0:1]
	ds_read_b128 v[26:29], v1 offset:96
	v_cmp_nlt_f32_e64 s[0:1], s11, v47
	s_nop 1
	v_cndmask_b32_e64 v47, v58, v60, s[0:1]
	v_pk_fma_f32 v[46:47], v[22:23], v[46:47], v[42:43]
	ds_read_b128 v[60:63], v1 offset:112
	s_waitcnt lgkmcnt(1)
	v_pk_mul_f32 v[22:23], v[26:27], v[46:47]
	v_mul_f32_e32 v26, v57, v8
	v_mul_f32_e32 v27, 0x3fb8aa3b, v26
	v_fma_f32 v42, v26, s14, -v27
	v_rndne_f32_e32 v43, v27
	v_fmac_f32_e32 v42, 0x32a5705f, v26
	v_sub_f32_e32 v27, v27, v43
	v_add_f32_e32 v27, v27, v42
	v_cvt_i32_f32_e32 v42, v43
	v_mul_f32_e32 v43, v57, v9
	v_add_f32_e32 v22, v64, v22
	v_mul_f32_e32 v64, 0x3fb8aa3b, v43
	v_fma_f32 v65, v43, s14, -v64
	v_rndne_f32_e32 v66, v64
	v_fmac_f32_e32 v65, 0x32a5705f, v43
	v_sub_f32_e32 v64, v64, v66
	v_add_f32_e32 v64, v64, v65
	v_exp_f32_e32 v27, v27
	v_exp_f32_e32 v64, v64
	v_cvt_i32_f32_e32 v65, v66
	v_cmp_ngt_f32_e64 s[0:1], s3, v43
	v_ldexp_f32 v27, v27, v42
	v_add_f32_e32 v66, v22, v23
	v_ldexp_f32 v42, v64, v65
	v_cndmask_b32_e64 v42, 0, v42, s[0:1]
	v_cmp_ngt_f32_e64 s[0:1], s3, v26
	v_pk_mul_f32 v[22:23], v[56:57], v[44:45] op_sel_hi:[0,1]
	s_nop 0
	v_cndmask_b32_e64 v27, 0, v27, s[0:1]
	v_cmp_nlt_f32_e64 s[0:1], s11, v26
	s_nop 1
	v_cndmask_b32_e64 v26, v58, v27, s[0:1]
	v_cmp_nlt_f32_e64 s[0:1], s11, v43
	s_nop 1
	v_cndmask_b32_e64 v27, v58, v42, s[0:1]
	v_pk_fma_f32 v[42:43], v[24:25], v[26:27], v[22:23]
	v_mul_f32_e32 v24, v57, v2
	v_mul_f32_e32 v22, 0x3fb8aa3b, v24
	v_fma_f32 v23, v24, s14, -v22
	v_rndne_f32_e32 v25, v22
	v_fmac_f32_e32 v23, 0x32a5705f, v24
	v_sub_f32_e32 v22, v22, v25
	v_add_f32_e32 v22, v22, v23
	v_exp_f32_e32 v26, v22
	v_cvt_i32_f32_e32 v25, v25
	v_pk_mul_f32 v[22:23], v[28:29], v[42:43]
	v_cmp_ngt_f32_e64 s[0:1], s3, v24
	v_add_f32_e32 v22, v66, v22
	v_add_f32_e32 v27, v22, v23
	v_mul_f32_e32 v23, v57, v3
	v_ldexp_f32 v22, v26, v25
	v_mul_f32_e32 v25, 0x3fb8aa3b, v23
	v_fma_f32 v26, v23, s14, -v25
	v_rndne_f32_e32 v28, v25
	v_fmac_f32_e32 v26, 0x32a5705f, v23
	v_sub_f32_e32 v25, v25, v28
	v_add_f32_e32 v25, v25, v26
	v_exp_f32_e32 v25, v25
	v_cvt_i32_f32_e32 v26, v28
	v_cndmask_b32_e64 v22, 0, v22, s[0:1]
	v_cmp_nlt_f32_e64 s[0:1], s11, v24
	v_ldexp_f32 v24, v25, v26
	s_nop 0
	v_cndmask_b32_e64 v22, v58, v22, s[0:1]
	v_cmp_ngt_f32_e64 s[0:1], s3, v23
	s_nop 1
	v_cndmask_b32_e64 v24, 0, v24, s[0:1]
	v_cmp_nlt_f32_e64 s[0:1], s11, v23
	s_nop 1
	v_cndmask_b32_e64 v23, v58, v24, s[0:1]
	v_pk_mul_f32 v[24:25], v[56:57], v[30:31] op_sel_hi:[0,1]
	v_pk_fma_f32 v[44:45], v[18:19], v[22:23], v[24:25]
	v_mul_f32_e32 v22, v57, v4
	v_mul_f32_e32 v18, 0x3fb8aa3b, v22
	v_fma_f32 v19, v22, s14, -v18
	v_rndne_f32_e32 v23, v18
	v_fmac_f32_e32 v19, 0x32a5705f, v22
	v_sub_f32_e32 v18, v18, v23
	v_add_f32_e32 v18, v18, v19
	v_exp_f32_e32 v24, v18
	v_cvt_i32_f32_e32 v23, v23
	s_waitcnt lgkmcnt(0)
	v_pk_mul_f32 v[18:19], v[60:61], v[44:45]
	v_cmp_ngt_f32_e64 s[0:1], s3, v22
	v_add_f32_e32 v18, v27, v18
	v_add_f32_e32 v25, v18, v19
	v_mul_f32_e32 v19, v57, v5
	v_ldexp_f32 v18, v24, v23
	v_mul_f32_e32 v23, 0x3fb8aa3b, v19
	v_fma_f32 v24, v19, s14, -v23
	v_rndne_f32_e32 v26, v23
	v_fmac_f32_e32 v24, 0x32a5705f, v19
	v_sub_f32_e32 v23, v23, v26
	v_add_f32_e32 v23, v23, v24
	v_exp_f32_e32 v23, v23
	v_cvt_i32_f32_e32 v24, v26
	v_cndmask_b32_e64 v18, 0, v18, s[0:1]
	v_cmp_nlt_f32_e64 s[0:1], s11, v22
	v_ldexp_f32 v22, v23, v24
	s_nop 0
	v_cndmask_b32_e64 v18, v58, v18, s[0:1]
	v_cmp_ngt_f32_e64 s[0:1], s3, v19
	s_nop 1
	v_cndmask_b32_e64 v22, 0, v22, s[0:1]
	v_cmp_nlt_f32_e64 s[0:1], s11, v19
	s_nop 1
	v_cndmask_b32_e64 v19, v58, v22, s[0:1]
	v_pk_mul_f32 v[22:23], v[56:57], v[32:33] op_sel_hi:[0,1]
	v_pk_fma_f32 v[32:33], v[20:21], v[18:19], v[22:23]
	s_nop 0
	v_pk_mul_f32 v[18:19], v[62:63], v[32:33]
	s_nop 0
	v_add_f32_e32 v18, v25, v18
	v_add_f32_e32 v18, v18, v19
	global_store_dword v0, v18, s[16:17]
	s_barrier
	s_and_saveexec_b64 s[0:1], vcc
	s_cbranch_execz .LBB4_6
; %bb.5:
	v_lshl_add_u64 v[18:19], s[4:5], 2, v[38:39]
	global_load_dword v20, v[18:19], off
	v_lshl_add_u64 v[18:19], s[12:13], 2, v[36:37]
	global_load_dword v18, v[18:19], off
	s_waitcnt vmcnt(1)
	ds_write_b32 v0, v20
	s_waitcnt vmcnt(0)
	ds_write_b32 v59, v18
.LBB4_6:
	s_or_b64 exec, exec, s[0:1]
	s_ashr_i32 s14, s24, 2
	s_ashr_i32 s15, s14, 31
	v_lshl_add_u64 v[54:55], s[14:15], 2, v[54:55]
	s_waitcnt lgkmcnt(0)
	s_barrier
	global_load_dword v60, v[54:55], off
	s_mov_b32 s0, 0x41a00000
	v_lshl_add_u64 v[18:19], s[6:7], 0, v[0:1]
	v_lshl_add_u64 v[22:23], s[16:17], 0, v[0:1]
	s_waitcnt vmcnt(0)
	v_cmp_ge_f32_e64 s[0:1], s0, v60
	s_and_saveexec_b64 s[6:7], s[0:1]
	s_cbranch_execz .LBB4_8
; %bb.7:
	v_mul_f32_e32 v1, 0x3fb8aa3b, v60
	s_mov_b32 s0, 0x3fb8aa3b
	v_rndne_f32_e32 v20, v1
	v_sub_f32_e32 v21, v1, v20
	v_fma_f32 v1, v60, s0, -v1
	v_fmamk_f32 v1, v60, 0x32a5705f, v1
	v_add_f32_e32 v1, v21, v1
	v_exp_f32_e32 v1, v1
	v_cvt_i32_f32_e32 v20, v20
	s_mov_b32 s0, 0xc2ce8ed0
	v_cmp_ngt_f32_e64 s[0:1], s0, v60
	v_mov_b32_e32 v58, 0x7f800000
	v_ldexp_f32 v1, v1, v20
	v_cndmask_b32_e64 v1, 0, v1, s[0:1]
	s_mov_b32 s0, 0x42b17218
	v_cmp_nlt_f32_e64 s[0:1], s0, v60
	s_mov_b32 s3, 0x7f800000
	s_nop 0
	v_cndmask_b32_e64 v1, v58, v1, s[0:1]
	v_add_f32_e32 v24, 1.0, v1
	v_add_f32_e32 v20, -1.0, v24
	v_sub_f32_e32 v21, v20, v24
	v_add_f32_e32 v21, 1.0, v21
	v_sub_f32_e32 v20, v1, v20
	v_add_f32_e32 v25, v20, v21
	v_frexp_mant_f32_e32 v26, v24
	s_mov_b32 s0, 0x3f2aaaab
	v_cvt_f64_f32_e32 v[20:21], v24
	v_frexp_exp_i32_f64_e32 v20, v[20:21]
	v_cmp_gt_f32_e64 s[0:1], s0, v26
	s_nop 1
	v_subbrev_co_u32_e64 v30, s[0:1], 0, v20, s[0:1]
	v_sub_u32_e32 v20, 0, v30
	v_ldexp_f32 v21, v24, v20
	v_add_f32_e32 v24, -1.0, v21
	v_add_f32_e32 v26, 1.0, v21
	v_ldexp_f32 v20, v25, v20
	v_add_f32_e32 v25, 1.0, v24
	v_add_f32_e32 v27, -1.0, v26
	v_sub_f32_e32 v25, v21, v25
	v_sub_f32_e32 v21, v21, v27
	v_add_f32_e32 v25, v20, v25
	v_add_f32_e32 v20, v20, v21
	;; [unrolled: 1-line block ×3, first 2 shown]
	v_rcp_f32_e32 v57, v31
	v_sub_f32_e32 v21, v26, v31
	v_add_f32_e32 v56, v20, v21
	v_add_f32_e32 v21, v24, v25
	v_mul_f32_e32 v61, v21, v57
	v_sub_f32_e32 v20, v24, v21
	v_mul_f32_e32 v24, v31, v61
	v_fma_f32 v26, v61, v31, -v24
	v_fmac_f32_e32 v26, v61, v56
	v_add_f32_e32 v60, v25, v20
	v_add_f32_e32 v20, v24, v26
	v_sub_f32_e32 v25, v21, v20
	v_pk_add_f32 v[28:29], v[20:21], v[24:25] neg_lo:[0,1] neg_hi:[0,1]
	v_mov_b32_e32 v27, v20
	v_pk_add_f32 v[20:21], v[28:29], v[26:27] neg_lo:[0,1] neg_hi:[0,1]
	s_mov_b32 s0, 0x3f317218
	v_add_f32_e32 v21, v60, v21
	v_add_f32_e32 v20, v20, v21
	;; [unrolled: 1-line block ×3, first 2 shown]
	v_mul_f32_e32 v60, v57, v21
	v_mul_f32_e32 v24, v31, v60
	v_fma_f32 v26, v60, v31, -v24
	v_fmac_f32_e32 v26, v60, v56
	v_sub_f32_e32 v25, v25, v21
	v_add_f32_e32 v31, v20, v25
	v_add_f32_e32 v20, v24, v26
	v_sub_f32_e32 v25, v21, v20
	v_pk_add_f32 v[28:29], v[20:21], v[24:25] neg_lo:[0,1] neg_hi:[0,1]
	v_mov_b32_e32 v27, v20
	v_pk_add_f32 v[20:21], v[28:29], v[26:27] neg_lo:[0,1] neg_hi:[0,1]
	v_cvt_f32_i32_e32 v24, v30
	v_add_f32_e32 v21, v31, v21
	v_add_f32_e32 v20, v20, v21
	v_add_f32_e32 v20, v25, v20
	v_add_f32_e32 v25, v61, v60
	v_sub_f32_e32 v21, v25, v61
	v_mul_f32_e32 v20, v57, v20
	v_sub_f32_e32 v21, v60, v21
	v_add_f32_e32 v20, v21, v20
	v_add_f32_e32 v26, v25, v20
	v_mul_f32_e32 v28, v26, v26
	v_mov_b32_e32 v21, 0x3ecc95a3
	v_sub_f32_e32 v25, v26, v25
	v_fmac_f32_e32 v21, 0x3e9b6dac, v28
	v_sub_f32_e32 v20, v20, v25
	v_fmaak_f32 v21, v28, v21, 0x3f2aaada
	v_ldexp_f32 v29, v20, 1
	v_mul_f32_e32 v25, v26, v28
	v_mov_b32_e32 v20, 0x3f317218
	v_pk_mul_f32 v[20:21], v[24:25], v[20:21]
	v_ldexp_f32 v27, v26, 1
	v_fma_f32 v25, v24, s0, -v20
	v_fmamk_f32 v26, v24, 0xb102e308, v25
	v_pk_add_f32 v[24:25], v[20:21], v[26:27]
	v_mov_b32_e32 v28, v20
	v_sub_f32_e32 v27, v25, v27
	v_sub_f32_e32 v27, v21, v27
	v_add_f32_e32 v29, v29, v27
	v_pk_add_f32 v[20:21], v[24:25], v[20:21] neg_lo:[0,1] neg_hi:[0,1]
	v_pk_add_f32 v[30:31], v[24:25], v[28:29]
	v_mov_b32_e32 v27, v24
	v_mov_b32_e32 v21, v31
	v_pk_add_f32 v[56:57], v[26:27], v[20:21] neg_lo:[0,1] neg_hi:[0,1]
	v_pk_add_f32 v[20:21], v[26:27], v[20:21]
	v_mov_b32_e32 v28, v29
	v_pk_add_f32 v[26:27], v[20:21], v[24:25] op_sel:[1,0] op_sel_hi:[0,1] neg_lo:[0,1] neg_hi:[0,1]
	v_pk_add_f32 v[60:61], v[30:31], v[26:27] op_sel_hi:[1,0] neg_lo:[0,1] neg_hi:[0,1]
	v_mov_b32_e32 v30, v31
	v_mov_b32_e32 v31, v21
	v_pk_mov_b32 v[26:27], v[24:25], v[26:27] op_sel:[1,0]
	v_mov_b32_e32 v29, v24
	v_pk_add_f32 v[26:27], v[30:31], v[26:27] neg_lo:[0,1] neg_hi:[0,1]
	v_mov_b32_e32 v60, v56
	v_pk_add_f32 v[24:25], v[28:29], v[26:27] neg_lo:[0,1] neg_hi:[0,1]
	v_mov_b32_e32 v57, v21
	v_pk_add_f32 v[26:27], v[60:61], v[24:25]
	v_cmp_neq_f32_e64 s[0:1], s3, v1
	v_pk_add_f32 v[28:29], v[26:27], v[26:27] op_sel:[0,1] op_sel_hi:[1,0]
	s_nop 0
	v_pk_add_f32 v[20:21], v[20:21], v[28:29] op_sel:[1,0] op_sel_hi:[0,1]
	v_mov_b32_e32 v27, v20
	v_pk_add_f32 v[30:31], v[26:27], v[56:57] neg_lo:[0,1] neg_hi:[0,1]
	v_mov_b32_e32 v25, v28
	v_sub_f32_e32 v21, v26, v30
	v_pk_add_f32 v[24:25], v[24:25], v[30:31] neg_lo:[0,1] neg_hi:[0,1]
	v_sub_f32_e32 v21, v56, v21
	v_add_f32_e32 v21, v24, v21
	v_add_f32_e32 v21, v21, v25
	;; [unrolled: 1-line block ×3, first 2 shown]
	v_cndmask_b32_e64 v20, v58, v20, s[0:1]
	s_mov_b32 s0, 0x33800000
	v_cmp_gt_f32_e64 s[0:1], s0, v1
	s_nop 1
	v_cndmask_b32_e64 v60, v20, v1, s[0:1]
.LBB4_8:
	s_or_b64 exec, exec, s[6:7]
	s_ashr_i32 s16, s22, 2
	s_ashr_i32 s17, s16, 31
	v_lshl_add_u64 v[56:57], s[16:17], 2, v[18:19]
	global_load_dword v26, v[56:57], off
	v_mul_f32_e32 v24, v60, v14
	s_mov_b32 s11, 0x3fb8aa3b
	v_mul_f32_e32 v25, v60, v15
	v_mul_f32_e32 v70, 0x3fb8aa3b, v24
	;; [unrolled: 1-line block ×4, first 2 shown]
	v_fma_f32 v76, v24, s11, -v70
	v_rndne_f32_e32 v77, v70
	v_mul_f32_e32 v58, v60, v17
	v_mul_f32_e32 v73, 0x3fb8aa3b, v27
	v_fma_f32 v78, v25, s11, -v71
	v_rndne_f32_e32 v79, v71
	v_fmac_f32_e32 v76, 0x32a5705f, v24
	v_sub_f32_e32 v70, v70, v77
	v_mul_f32_e32 v74, 0x3fb8aa3b, v58
	v_fma_f32 v80, v27, s11, -v73
	v_rndne_f32_e32 v81, v73
	v_fmac_f32_e32 v78, 0x32a5705f, v25
	v_sub_f32_e32 v71, v71, v79
	v_add_f32_e32 v70, v70, v76
	v_fma_f32 v82, v58, s11, -v74
	v_rndne_f32_e32 v83, v74
	v_fmac_f32_e32 v80, 0x32a5705f, v27
	v_sub_f32_e32 v73, v73, v81
	v_cvt_i32_f32_e32 v77, v77
	v_add_f32_e32 v71, v71, v78
	v_exp_f32_e32 v70, v70
	v_fmac_f32_e32 v82, 0x32a5705f, v58
	v_sub_f32_e32 v74, v74, v83
	v_cvt_i32_f32_e32 v79, v79
	v_add_f32_e32 v73, v73, v80
	v_exp_f32_e32 v71, v71
	v_cvt_i32_f32_e32 v81, v81
	v_add_f32_e32 v74, v74, v82
	v_exp_f32_e32 v73, v73
	s_mov_b32 s3, 0xc2ce8ed0
	v_cvt_i32_f32_e32 v83, v83
	v_exp_f32_e32 v74, v74
	v_ldexp_f32 v70, v70, v77
	v_cmp_ngt_f32_e64 s[0:1], s3, v24
	v_ldexp_f32 v71, v71, v79
	v_ldexp_f32 v73, v73, v81
	v_cndmask_b32_e64 v70, 0, v70, s[0:1]
	v_cmp_ngt_f32_e64 s[0:1], s3, v25
	s_mov_b32 s7, s10
	s_mov_b32 s10, 0x42b17218
	v_cndmask_b32_e64 v71, 0, v71, s[0:1]
	v_cmp_ngt_f32_e64 s[0:1], s3, v27
	v_mov_b32_e32 v61, 0
	v_ldexp_f32 v74, v74, v83
	v_cndmask_b32_e64 v73, 0, v73, s[0:1]
	v_cmp_ngt_f32_e64 s[0:1], s3, v58
	v_mov_b32_e32 v1, 0x7f800000
	ds_read_b128 v[18:21], v61
	ds_read_b128 v[28:31], v61 offset:16
	v_cndmask_b32_e64 v74, 0, v74, s[0:1]
	v_cmp_nlt_f32_e64 s[0:1], s10, v24
	v_mul_f32_e32 v72, v60, v10
	v_mul_f32_e32 v75, 0x3fb8aa3b, v72
	v_cndmask_b32_e64 v24, v1, v70, s[0:1]
	v_cmp_nlt_f32_e64 s[0:1], s10, v25
	v_fma_f32 v84, v72, s11, -v75
	v_rndne_f32_e32 v85, v75
	v_cndmask_b32_e64 v25, v1, v71, s[0:1]
	v_cmp_nlt_f32_e64 s[0:1], s10, v27
	v_fmac_f32_e32 v84, 0x32a5705f, v72
	v_sub_f32_e32 v75, v75, v85
	v_cndmask_b32_e64 v70, v1, v73, s[0:1]
	v_cmp_nlt_f32_e64 s[0:1], s10, v58
	v_add_f32_e32 v75, v75, v84
	v_cvt_i32_f32_e32 v85, v85
	v_cndmask_b32_e64 v71, v1, v74, s[0:1]
	v_exp_f32_e32 v75, v75
	v_cmp_ngt_f32_e64 s[0:1], s3, v72
	ds_read_b128 v[62:65], v61 offset:64
	ds_read_b128 v[66:69], v61 offset:80
	s_mov_b32 s6, 0
	v_ldexp_f32 v75, v75, v85
	s_waitcnt vmcnt(0)
	v_mul_f32_e32 v58, v60, v26
	s_waitcnt lgkmcnt(3)
	v_pk_mul_f32 v[18:19], v[58:59], v[18:19] op_sel_hi:[0,1]
	v_pk_fma_f32 v[26:27], v[48:49], v[24:25], v[18:19]
	v_mul_f32_e32 v19, v60, v11
	v_pk_mul_f32 v[20:21], v[58:59], v[20:21] op_sel_hi:[0,1]
	v_mul_f32_e32 v18, 0x3fb8aa3b, v19
	v_pk_fma_f32 v[24:25], v[50:51], v[70:71], v[20:21]
	v_fma_f32 v20, v19, s11, -v18
	v_rndne_f32_e32 v21, v18
	v_fmac_f32_e32 v20, 0x32a5705f, v19
	v_sub_f32_e32 v18, v18, v21
	v_add_f32_e32 v18, v18, v20
	v_exp_f32_e32 v20, v18
	v_cvt_i32_f32_e32 v21, v21
	v_cndmask_b32_e64 v18, 0, v75, s[0:1]
	v_cmp_nlt_f32_e64 s[0:1], s10, v72
	s_waitcnt lgkmcnt(1)
	v_fma_f32 v48, v62, v26, 0
	v_ldexp_f32 v20, v20, v21
	v_cndmask_b32_e64 v18, v1, v18, s[0:1]
	v_cmp_ngt_f32_e64 s[0:1], s3, v19
	v_fmac_f32_e32 v48, v63, v27
	v_fmac_f32_e32 v48, v64, v24
	v_cndmask_b32_e64 v20, 0, v20, s[0:1]
	v_cmp_nlt_f32_e64 s[0:1], s10, v19
	v_pk_mul_f32 v[30:31], v[58:59], v[30:31] op_sel_hi:[0,1]
	v_fmac_f32_e32 v48, v65, v25
	v_cndmask_b32_e64 v19, v1, v20, s[0:1]
	v_pk_mul_f32 v[20:21], v[58:59], v[28:29] op_sel_hi:[0,1]
	v_pk_fma_f32 v[28:29], v[52:53], v[18:19], v[20:21]
	v_mul_f32_e32 v52, v60, v12
	v_mul_f32_e32 v18, 0x3fb8aa3b, v52
	v_fma_f32 v19, v52, s11, -v18
	v_rndne_f32_e32 v20, v18
	v_mul_f32_e32 v53, v60, v13
	v_fmac_f32_e32 v19, 0x32a5705f, v52
	v_sub_f32_e32 v18, v18, v20
	v_mul_f32_e32 v49, 0x3fb8aa3b, v53
	v_add_f32_e32 v18, v18, v19
	v_fma_f32 v50, v53, s11, -v49
	v_rndne_f32_e32 v51, v49
	v_exp_f32_e32 v21, v18
	v_cvt_i32_f32_e32 v20, v20
	v_fmac_f32_e32 v50, 0x32a5705f, v53
	v_sub_f32_e32 v49, v49, v51
	v_add_f32_e32 v49, v49, v50
	v_exp_f32_e32 v49, v49
	v_cvt_i32_f32_e32 v50, v51
	v_ldexp_f32 v63, v21, v20
	v_cmp_ngt_f32_e64 s[0:1], s3, v52
	s_waitcnt lgkmcnt(0)
	v_pk_mul_f32 v[18:19], v[66:67], v[28:29]
	v_ldexp_f32 v64, v49, v50
	v_cndmask_b32_e64 v63, 0, v63, s[0:1]
	v_cmp_nlt_f32_e64 s[0:1], s10, v52
	v_add_f32_e32 v18, v48, v18
	v_add_f32_e32 v62, v18, v19
	v_cndmask_b32_e64 v52, v1, v63, s[0:1]
	v_cmp_ngt_f32_e64 s[0:1], s3, v53
	ds_read_b128 v[48:51], v61 offset:32
	ds_read_b128 v[18:21], v61 offset:48
	v_cndmask_b32_e64 v63, 0, v64, s[0:1]
	v_cmp_nlt_f32_e64 s[0:1], s10, v53
	s_waitcnt lgkmcnt(1)
	v_pk_mul_f32 v[48:49], v[58:59], v[48:49] op_sel_hi:[0,1]
	v_cndmask_b32_e64 v53, v1, v63, s[0:1]
	v_pk_fma_f32 v[30:31], v[40:41], v[52:53], v[30:31]
	v_mul_f32_e32 v52, v60, v6
	v_mul_f32_e32 v40, 0x3fb8aa3b, v52
	v_fma_f32 v41, v52, s11, -v40
	v_rndne_f32_e32 v53, v40
	v_fmac_f32_e32 v41, 0x32a5705f, v52
	v_sub_f32_e32 v40, v40, v53
	v_add_f32_e32 v40, v40, v41
	v_exp_f32_e32 v63, v40
	v_cvt_i32_f32_e32 v53, v53
	v_pk_mul_f32 v[40:41], v[68:69], v[30:31]
	v_cmp_ngt_f32_e64 s[0:1], s3, v52
	v_add_f32_e32 v40, v62, v40
	v_add_f32_e32 v66, v40, v41
	v_mul_f32_e32 v41, v60, v7
	v_ldexp_f32 v40, v63, v53
	v_mul_f32_e32 v53, 0x3fb8aa3b, v41
	v_fma_f32 v62, v41, s11, -v53
	v_rndne_f32_e32 v63, v53
	v_fmac_f32_e32 v62, 0x32a5705f, v41
	v_sub_f32_e32 v53, v53, v63
	v_add_f32_e32 v53, v53, v62
	v_exp_f32_e32 v53, v53
	v_cvt_i32_f32_e32 v62, v63
	v_cndmask_b32_e64 v40, 0, v40, s[0:1]
	v_cmp_nlt_f32_e64 s[0:1], s10, v52
	v_pk_mul_f32 v[50:51], v[58:59], v[50:51] op_sel_hi:[0,1]
	v_ldexp_f32 v52, v53, v62
	v_cndmask_b32_e64 v40, v1, v40, s[0:1]
	v_cmp_ngt_f32_e64 s[0:1], s3, v41
	s_waitcnt lgkmcnt(0)
	v_pk_mul_f32 v[18:19], v[58:59], v[18:19] op_sel_hi:[0,1]
	v_pk_mul_f32 v[20:21], v[58:59], v[20:21] op_sel_hi:[0,1]
	v_cndmask_b32_e64 v52, 0, v52, s[0:1]
	v_cmp_nlt_f32_e64 s[0:1], s10, v41
	s_nop 1
	v_cndmask_b32_e64 v41, v1, v52, s[0:1]
	v_pk_fma_f32 v[40:41], v[46:47], v[40:41], v[48:49]
	ds_read_b128 v[46:49], v61 offset:96
	v_mul_f32_e32 v52, v60, v8
	v_mul_f32_e32 v53, 0x3fb8aa3b, v52
	v_fma_f32 v62, v52, s11, -v53
	v_rndne_f32_e32 v63, v53
	v_fmac_f32_e32 v62, 0x32a5705f, v52
	v_sub_f32_e32 v53, v53, v63
	v_add_f32_e32 v53, v53, v62
	v_cvt_i32_f32_e32 v67, v63
	ds_read_b128 v[62:65], v61 offset:112
	s_waitcnt lgkmcnt(1)
	v_pk_mul_f32 v[46:47], v[46:47], v[40:41]
	v_exp_f32_e32 v53, v53
	v_add_f32_e32 v46, v66, v46
	v_add_f32_e32 v61, v46, v47
	v_mul_f32_e32 v47, v60, v9
	v_mul_f32_e32 v46, 0x3fb8aa3b, v47
	v_fma_f32 v66, v47, s11, -v46
	v_rndne_f32_e32 v68, v46
	v_fmac_f32_e32 v66, 0x32a5705f, v47
	v_sub_f32_e32 v46, v46, v68
	v_add_f32_e32 v46, v46, v66
	v_exp_f32_e32 v46, v46
	v_cvt_i32_f32_e32 v66, v68
	v_ldexp_f32 v53, v53, v67
	v_cmp_ngt_f32_e64 s[0:1], s3, v52
	v_ldexp_f32 v66, v46, v66
	s_nop 0
	v_cndmask_b32_e64 v53, 0, v53, s[0:1]
	v_cmp_nlt_f32_e64 s[0:1], s10, v52
	s_nop 1
	v_cndmask_b32_e64 v46, v1, v53, s[0:1]
	v_cmp_ngt_f32_e64 s[0:1], s3, v47
	s_nop 1
	v_cndmask_b32_e64 v52, 0, v66, s[0:1]
	v_cmp_nlt_f32_e64 s[0:1], s10, v47
	s_nop 1
	v_cndmask_b32_e64 v47, v1, v52, s[0:1]
	v_pk_fma_f32 v[42:43], v[42:43], v[46:47], v[50:51]
	v_mul_f32_e32 v50, v60, v2
	v_mul_f32_e32 v46, 0x3fb8aa3b, v50
	v_fma_f32 v47, v50, s11, -v46
	v_rndne_f32_e32 v51, v46
	v_fmac_f32_e32 v47, 0x32a5705f, v50
	v_sub_f32_e32 v46, v46, v51
	v_add_f32_e32 v46, v46, v47
	v_exp_f32_e32 v52, v46
	v_cvt_i32_f32_e32 v51, v51
	v_pk_mul_f32 v[46:47], v[48:49], v[42:43]
	v_cmp_ngt_f32_e64 s[0:1], s3, v50
	v_add_f32_e32 v46, v61, v46
	v_add_f32_e32 v48, v46, v47
	v_mul_f32_e32 v47, v60, v3
	v_mul_f32_e32 v49, 0x3fb8aa3b, v47
	v_ldexp_f32 v46, v52, v51
	v_fma_f32 v51, v47, s11, -v49
	v_rndne_f32_e32 v52, v49
	v_fmac_f32_e32 v51, 0x32a5705f, v47
	v_sub_f32_e32 v49, v49, v52
	v_add_f32_e32 v49, v49, v51
	v_exp_f32_e32 v49, v49
	v_cvt_i32_f32_e32 v51, v52
	v_cndmask_b32_e64 v46, 0, v46, s[0:1]
	v_cmp_nlt_f32_e64 s[0:1], s10, v50
	v_ldexp_f32 v49, v49, v51
	s_nop 0
	v_cndmask_b32_e64 v46, v1, v46, s[0:1]
	v_cmp_ngt_f32_e64 s[0:1], s3, v47
	s_nop 1
	v_cndmask_b32_e64 v49, 0, v49, s[0:1]
	v_cmp_nlt_f32_e64 s[0:1], s10, v47
	s_nop 1
	v_cndmask_b32_e64 v47, v1, v49, s[0:1]
	v_pk_fma_f32 v[18:19], v[44:45], v[46:47], v[18:19]
	v_mul_f32_e32 v46, v60, v4
	v_mul_f32_e32 v44, 0x3fb8aa3b, v46
	v_fma_f32 v45, v46, s11, -v44
	v_rndne_f32_e32 v47, v44
	v_fmac_f32_e32 v45, 0x32a5705f, v46
	v_sub_f32_e32 v44, v44, v47
	v_add_f32_e32 v44, v44, v45
	v_exp_f32_e32 v49, v44
	v_cvt_i32_f32_e32 v47, v47
	s_waitcnt lgkmcnt(0)
	v_pk_mul_f32 v[44:45], v[62:63], v[18:19]
	v_cmp_ngt_f32_e64 s[0:1], s3, v46
	v_add_f32_e32 v44, v48, v44
	v_add_f32_e32 v48, v44, v45
	v_mul_f32_e32 v45, v60, v5
	v_ldexp_f32 v44, v49, v47
	v_mul_f32_e32 v47, 0x3fb8aa3b, v45
	v_fma_f32 v49, v45, s11, -v47
	v_rndne_f32_e32 v50, v47
	v_fmac_f32_e32 v49, 0x32a5705f, v45
	v_sub_f32_e32 v47, v47, v50
	v_add_f32_e32 v47, v47, v49
	v_exp_f32_e32 v47, v47
	v_cvt_i32_f32_e32 v49, v50
	v_cndmask_b32_e64 v44, 0, v44, s[0:1]
	v_cmp_nlt_f32_e64 s[0:1], s10, v46
	v_ldexp_f32 v46, v47, v49
	s_nop 0
	v_cndmask_b32_e64 v44, v1, v44, s[0:1]
	v_cmp_ngt_f32_e64 s[0:1], s3, v45
	s_nop 1
	v_cndmask_b32_e64 v46, 0, v46, s[0:1]
	v_cmp_nlt_f32_e64 s[0:1], s10, v45
	s_nop 1
	v_cndmask_b32_e64 v45, v1, v46, s[0:1]
	v_pk_fma_f32 v[20:21], v[32:33], v[44:45], v[20:21]
	s_ashr_i64 s[0:1], s[6:7], 30
	v_pk_mul_f32 v[32:33], v[64:65], v[20:21]
	s_nop 0
	v_add_f32_e32 v1, v48, v32
	v_add_f32_e32 v1, v1, v33
	v_lshl_add_u64 v[32:33], v[22:23], 0, s[0:1]
	global_store_dword v[32:33], v1, off
	s_barrier
	s_and_saveexec_b64 s[0:1], vcc
	s_cbranch_execz .LBB4_10
; %bb.9:
	v_lshl_add_u64 v[32:33], s[4:5], 3, v[38:39]
	global_load_dword v1, v[32:33], off
	v_lshl_add_u64 v[32:33], s[12:13], 3, v[36:37]
	global_load_dword v32, v[32:33], off
	s_waitcnt vmcnt(1)
	ds_write_b32 v0, v1
	s_waitcnt vmcnt(0)
	ds_write_b32 v59, v32
.LBB4_10:
	s_or_b64 exec, exec, s[0:1]
	v_lshl_add_u64 v[0:1], s[14:15], 2, v[54:55]
	s_waitcnt lgkmcnt(0)
	s_barrier
	global_load_dword v1, v[0:1], off
	s_mov_b32 s0, 0x41a00000
	s_waitcnt vmcnt(0)
	v_cmp_ge_f32_e32 vcc, s0, v1
	s_and_saveexec_b64 s[0:1], vcc
	s_cbranch_execz .LBB4_12
; %bb.11:
	v_mul_f32_e32 v0, 0x3fb8aa3b, v1
	s_mov_b32 s3, 0x3fb8aa3b
	v_rndne_f32_e32 v32, v0
	v_sub_f32_e32 v33, v0, v32
	v_fma_f32 v0, v1, s3, -v0
	v_fmamk_f32 v0, v1, 0x32a5705f, v0
	v_add_f32_e32 v0, v33, v0
	v_exp_f32_e32 v0, v0
	v_cvt_i32_f32_e32 v32, v32
	s_mov_b32 s3, 0xc2ce8ed0
	v_cmp_ngt_f32_e32 vcc, s3, v1
	s_mov_b32 s3, 0x42b17218
	v_ldexp_f32 v0, v0, v32
	v_cndmask_b32_e32 v0, 0, v0, vcc
	v_mov_b32_e32 v50, 0x7f800000
	v_cmp_nlt_f32_e32 vcc, s3, v1
	s_mov_b32 s3, 0x3f2aaaab
	s_mov_b32 s4, 0x7f800000
	v_cndmask_b32_e32 v51, v50, v0, vcc
	v_add_f32_e32 v32, 1.0, v51
	v_add_f32_e32 v0, -1.0, v32
	v_sub_f32_e32 v1, v0, v32
	v_add_f32_e32 v1, 1.0, v1
	v_sub_f32_e32 v0, v51, v0
	v_add_f32_e32 v33, v0, v1
	v_frexp_mant_f32_e32 v36, v32
	v_cvt_f64_f32_e32 v[0:1], v32
	v_frexp_exp_i32_f64_e32 v0, v[0:1]
	v_cmp_gt_f32_e32 vcc, s3, v36
	s_mov_b32 s3, 0x3f317218
	s_nop 0
	v_subbrev_co_u32_e32 v44, vcc, 0, v0, vcc
	v_sub_u32_e32 v0, 0, v44
	v_ldexp_f32 v1, v32, v0
	v_add_f32_e32 v32, -1.0, v1
	v_add_f32_e32 v36, 1.0, v1
	v_ldexp_f32 v0, v33, v0
	v_add_f32_e32 v33, 1.0, v32
	v_add_f32_e32 v37, -1.0, v36
	v_sub_f32_e32 v33, v1, v33
	v_sub_f32_e32 v1, v1, v37
	v_add_f32_e32 v33, v0, v33
	v_add_f32_e32 v0, v0, v1
	;; [unrolled: 1-line block ×3, first 2 shown]
	v_rcp_f32_e32 v47, v45
	v_sub_f32_e32 v1, v36, v45
	v_add_f32_e32 v46, v0, v1
	v_add_f32_e32 v1, v32, v33
	v_mul_f32_e32 v49, v1, v47
	v_sub_f32_e32 v0, v32, v1
	v_mul_f32_e32 v32, v45, v49
	v_fma_f32 v36, v49, v45, -v32
	v_fmac_f32_e32 v36, v49, v46
	v_add_f32_e32 v48, v33, v0
	v_add_f32_e32 v0, v32, v36
	v_sub_f32_e32 v33, v1, v0
	v_pk_add_f32 v[38:39], v[0:1], v[32:33] neg_lo:[0,1] neg_hi:[0,1]
	v_mov_b32_e32 v37, v0
	v_pk_add_f32 v[0:1], v[38:39], v[36:37] neg_lo:[0,1] neg_hi:[0,1]
	v_cmp_neq_f32_e32 vcc, s4, v51
	v_add_f32_e32 v1, v48, v1
	v_add_f32_e32 v0, v0, v1
	;; [unrolled: 1-line block ×3, first 2 shown]
	v_mul_f32_e32 v48, v47, v1
	v_mul_f32_e32 v32, v45, v48
	v_fma_f32 v36, v48, v45, -v32
	v_fmac_f32_e32 v36, v48, v46
	v_sub_f32_e32 v33, v33, v1
	v_add_f32_e32 v45, v0, v33
	v_add_f32_e32 v0, v32, v36
	v_sub_f32_e32 v33, v1, v0
	v_pk_add_f32 v[38:39], v[0:1], v[32:33] neg_lo:[0,1] neg_hi:[0,1]
	v_mov_b32_e32 v37, v0
	v_pk_add_f32 v[0:1], v[38:39], v[36:37] neg_lo:[0,1] neg_hi:[0,1]
	v_cvt_f32_i32_e32 v32, v44
	v_add_f32_e32 v1, v45, v1
	v_add_f32_e32 v0, v0, v1
	;; [unrolled: 1-line block ×4, first 2 shown]
	v_sub_f32_e32 v1, v33, v49
	v_mul_f32_e32 v0, v47, v0
	v_sub_f32_e32 v1, v48, v1
	v_add_f32_e32 v0, v1, v0
	v_add_f32_e32 v36, v33, v0
	v_mul_f32_e32 v38, v36, v36
	v_mov_b32_e32 v1, 0x3ecc95a3
	v_sub_f32_e32 v33, v36, v33
	v_fmac_f32_e32 v1, 0x3e9b6dac, v38
	v_sub_f32_e32 v0, v0, v33
	v_fmaak_f32 v1, v38, v1, 0x3f2aaada
	v_ldexp_f32 v39, v0, 1
	v_mul_f32_e32 v33, v36, v38
	v_mov_b32_e32 v0, 0x3f317218
	v_pk_mul_f32 v[0:1], v[32:33], v[0:1]
	v_ldexp_f32 v37, v36, 1
	v_fma_f32 v33, v32, s3, -v0
	v_fmamk_f32 v36, v32, 0xb102e308, v33
	v_pk_add_f32 v[32:33], v[0:1], v[36:37]
	v_mov_b32_e32 v38, v0
	v_sub_f32_e32 v37, v33, v37
	v_sub_f32_e32 v37, v1, v37
	v_add_f32_e32 v39, v39, v37
	v_pk_add_f32 v[0:1], v[32:33], v[0:1] neg_lo:[0,1] neg_hi:[0,1]
	v_pk_add_f32 v[44:45], v[32:33], v[38:39]
	v_mov_b32_e32 v37, v32
	v_mov_b32_e32 v1, v45
	v_pk_add_f32 v[46:47], v[36:37], v[0:1] neg_lo:[0,1] neg_hi:[0,1]
	v_pk_add_f32 v[0:1], v[36:37], v[0:1]
	v_mov_b32_e32 v38, v39
	v_pk_add_f32 v[36:37], v[0:1], v[32:33] op_sel:[1,0] op_sel_hi:[0,1] neg_lo:[0,1] neg_hi:[0,1]
	v_pk_add_f32 v[48:49], v[44:45], v[36:37] op_sel_hi:[1,0] neg_lo:[0,1] neg_hi:[0,1]
	v_mov_b32_e32 v44, v45
	v_mov_b32_e32 v45, v1
	v_pk_mov_b32 v[36:37], v[32:33], v[36:37] op_sel:[1,0]
	v_mov_b32_e32 v39, v32
	v_pk_add_f32 v[36:37], v[44:45], v[36:37] neg_lo:[0,1] neg_hi:[0,1]
	v_mov_b32_e32 v48, v46
	v_pk_add_f32 v[32:33], v[38:39], v[36:37] neg_lo:[0,1] neg_hi:[0,1]
	v_mov_b32_e32 v47, v1
	v_pk_add_f32 v[36:37], v[48:49], v[32:33]
	s_mov_b32 s3, 0x33800000
	v_pk_add_f32 v[38:39], v[36:37], v[36:37] op_sel:[0,1] op_sel_hi:[1,0]
	s_nop 0
	v_pk_add_f32 v[0:1], v[0:1], v[38:39] op_sel:[1,0] op_sel_hi:[0,1]
	v_mov_b32_e32 v37, v0
	v_pk_add_f32 v[44:45], v[36:37], v[46:47] neg_lo:[0,1] neg_hi:[0,1]
	v_mov_b32_e32 v33, v38
	v_sub_f32_e32 v1, v36, v44
	v_pk_add_f32 v[32:33], v[32:33], v[44:45] neg_lo:[0,1] neg_hi:[0,1]
	v_sub_f32_e32 v1, v46, v1
	v_add_f32_e32 v1, v32, v1
	v_add_f32_e32 v1, v1, v33
	;; [unrolled: 1-line block ×3, first 2 shown]
	v_cndmask_b32_e32 v0, v50, v0, vcc
	v_cmp_gt_f32_e32 vcc, s3, v51
	s_nop 1
	v_cndmask_b32_e32 v1, v0, v51, vcc
.LBB4_12:
	s_or_b64 exec, exec, s[0:1]
	v_lshl_add_u64 v[32:33], s[16:17], 2, v[56:57]
	v_mul_f32_e32 v14, v1, v14
	global_load_dword v0, v[32:33], off
	s_mul_i32 s4, s21, s2
	s_mov_b32 s2, 0x3fb8aa3b
	v_mul_f32_e32 v15, v1, v15
	v_mul_f32_e32 v33, 0x3fb8aa3b, v14
	;; [unrolled: 1-line block ×4, first 2 shown]
	v_fma_f32 v44, v14, s2, -v33
	v_rndne_f32_e32 v45, v33
	v_mul_f32_e32 v17, v1, v17
	v_mul_f32_e32 v37, 0x3fb8aa3b, v16
	v_fma_f32 v46, v15, s2, -v36
	v_rndne_f32_e32 v47, v36
	v_fmac_f32_e32 v44, 0x32a5705f, v14
	v_sub_f32_e32 v33, v33, v45
	v_mul_f32_e32 v10, v1, v10
	v_mul_f32_e32 v38, 0x3fb8aa3b, v17
	v_fma_f32 v49, v16, s2, -v37
	v_rndne_f32_e32 v50, v37
	v_fmac_f32_e32 v46, 0x32a5705f, v15
	v_sub_f32_e32 v36, v36, v47
	v_add_f32_e32 v33, v33, v44
	v_mul_f32_e32 v39, 0x3fb8aa3b, v10
	v_fma_f32 v51, v17, s2, -v38
	v_rndne_f32_e32 v52, v38
	v_cvt_i32_f32_e32 v45, v45
	v_fmac_f32_e32 v49, 0x32a5705f, v16
	v_sub_f32_e32 v37, v37, v50
	v_add_f32_e32 v36, v36, v46
	v_exp_f32_e32 v33, v33
	v_fma_f32 v53, v10, s2, -v39
	v_rndne_f32_e32 v54, v39
	v_cvt_i32_f32_e32 v47, v47
	v_fmac_f32_e32 v51, 0x32a5705f, v17
	v_sub_f32_e32 v38, v38, v52
	v_add_f32_e32 v37, v37, v49
	v_exp_f32_e32 v36, v36
	v_cvt_i32_f32_e32 v50, v50
	v_fmac_f32_e32 v53, 0x32a5705f, v10
	v_sub_f32_e32 v39, v39, v54
	v_add_f32_e32 v38, v38, v51
	v_exp_f32_e32 v37, v37
	s_mov_b32 s0, 0xc2ce8ed0
	v_cvt_i32_f32_e32 v52, v52
	v_add_f32_e32 v39, v39, v53
	v_exp_f32_e32 v38, v38
	v_cvt_i32_f32_e32 v54, v54
	v_exp_f32_e32 v39, v39
	v_ldexp_f32 v33, v33, v45
	v_cmp_ngt_f32_e32 vcc, s0, v14
	v_ldexp_f32 v36, v36, v47
	v_ldexp_f32 v37, v37, v50
	v_cndmask_b32_e32 v33, 0, v33, vcc
	v_cmp_ngt_f32_e32 vcc, s0, v15
	v_ldexp_f32 v38, v38, v52
	s_mov_b32 s1, 0x42b17218
	v_cndmask_b32_e32 v36, 0, v36, vcc
	v_cmp_ngt_f32_e32 vcc, s0, v16
	v_ldexp_f32 v39, v39, v54
	v_mov_b32_e32 v32, 0x7f800000
	v_cndmask_b32_e32 v37, 0, v37, vcc
	v_cmp_ngt_f32_e32 vcc, s0, v17
	v_mul_f32_e32 v11, v1, v11
	v_mul_f32_e32 v12, v1, v12
	v_cndmask_b32_e32 v38, 0, v38, vcc
	v_cmp_ngt_f32_e32 vcc, s0, v10
	v_mul_f32_e32 v6, v1, v6
	v_mul_f32_e32 v7, v1, v7
	v_cndmask_b32_e32 v39, 0, v39, vcc
	v_cmp_nlt_f32_e32 vcc, s1, v14
	v_mul_f32_e32 v14, 0x3fb8aa3b, v11
	v_mul_f32_e32 v8, v1, v8
	v_cndmask_b32_e32 v52, v32, v33, vcc
	v_cmp_nlt_f32_e32 vcc, s1, v15
	v_fma_f32 v15, v11, s2, -v14
	v_fmac_f32_e32 v15, 0x32a5705f, v11
	v_cndmask_b32_e32 v53, v32, v36, vcc
	v_cmp_nlt_f32_e32 vcc, s1, v16
	v_rndne_f32_e32 v16, v14
	v_sub_f32_e32 v14, v14, v16
	v_add_f32_e32 v14, v14, v15
	v_exp_f32_e32 v33, v14
	v_cvt_i32_f32_e32 v44, v16
	v_cndmask_b32_e32 v54, v32, v37, vcc
	v_cmp_nlt_f32_e32 vcc, s1, v17
	v_mul_f32_e32 v2, v1, v2
	v_mul_f32_e32 v3, v1, v3
	v_cndmask_b32_e32 v55, v32, v38, vcc
	v_cmp_nlt_f32_e32 vcc, s1, v10
	v_ldexp_f32 v10, v33, v44
	v_mul_f32_e32 v33, 0x3fb8aa3b, v12
	v_fma_f32 v44, v12, s2, -v33
	v_rndne_f32_e32 v45, v33
	v_fmac_f32_e32 v44, 0x32a5705f, v12
	v_sub_f32_e32 v33, v33, v45
	v_add_f32_e32 v33, v33, v44
	v_exp_f32_e32 v33, v33
	v_cvt_i32_f32_e32 v44, v45
	v_cndmask_b32_e32 v56, v32, v39, vcc
	v_cmp_ngt_f32_e32 vcc, s0, v11
	v_mul_f32_e32 v4, v1, v4
	s_waitcnt vmcnt(0)
	v_mul_f32_e32 v0, v1, v0
	v_cndmask_b32_e32 v10, 0, v10, vcc
	v_cmp_nlt_f32_e32 vcc, s1, v11
	v_mul_f32_e32 v11, v1, v13
	v_mul_f32_e32 v13, 0x3fb8aa3b, v11
	v_cndmask_b32_e32 v57, v32, v10, vcc
	v_ldexp_f32 v10, v33, v44
	v_fma_f32 v33, v11, s2, -v13
	v_rndne_f32_e32 v44, v13
	v_fmac_f32_e32 v33, 0x32a5705f, v11
	v_sub_f32_e32 v13, v13, v44
	v_add_f32_e32 v13, v13, v33
	v_exp_f32_e32 v13, v13
	v_cvt_i32_f32_e32 v33, v44
	v_cmp_ngt_f32_e32 vcc, s0, v12
	v_mov_b32_e32 v48, 0
	s_add_u32 s3, s18, s8
	v_cndmask_b32_e32 v10, 0, v10, vcc
	v_cmp_nlt_f32_e32 vcc, s1, v12
	v_mul_f32_e32 v12, 0x3fb8aa3b, v6
	ds_read_b128 v[14:17], v48 offset:64
	ds_read_b128 v[36:39], v48 offset:80
	v_cndmask_b32_e32 v58, v32, v10, vcc
	v_ldexp_f32 v10, v13, v33
	v_fma_f32 v13, v6, s2, -v12
	v_rndne_f32_e32 v33, v12
	v_fmac_f32_e32 v13, 0x32a5705f, v6
	v_sub_f32_e32 v12, v12, v33
	v_add_f32_e32 v12, v12, v13
	v_exp_f32_e32 v12, v12
	v_cvt_i32_f32_e32 v13, v33
	v_cmp_ngt_f32_e32 vcc, s0, v11
	s_addc_u32 s5, s19, s9
	s_add_u32 s3, s3, s4
	v_cndmask_b32_e32 v10, 0, v10, vcc
	v_cmp_nlt_f32_e32 vcc, s1, v11
	v_mul_f32_e32 v11, 0x3fb8aa3b, v7
	s_addc_u32 s4, s5, 0
	v_cndmask_b32_e32 v59, v32, v10, vcc
	v_ldexp_f32 v10, v12, v13
	v_fma_f32 v12, v7, s2, -v11
	v_rndne_f32_e32 v13, v11
	v_fmac_f32_e32 v12, 0x32a5705f, v7
	v_sub_f32_e32 v11, v11, v13
	v_add_f32_e32 v11, v11, v12
	v_exp_f32_e32 v11, v11
	v_cvt_i32_f32_e32 v12, v13
	v_cmp_ngt_f32_e32 vcc, s0, v6
	s_nop 1
	v_cndmask_b32_e32 v10, 0, v10, vcc
	v_cmp_nlt_f32_e32 vcc, s1, v6
	v_ldexp_f32 v6, v11, v12
	s_nop 0
	v_cndmask_b32_e32 v60, v32, v10, vcc
	v_mul_f32_e32 v10, 0x3fb8aa3b, v8
	v_fma_f32 v11, v8, s2, -v10
	v_rndne_f32_e32 v12, v10
	v_fmac_f32_e32 v11, 0x32a5705f, v8
	v_sub_f32_e32 v10, v10, v12
	v_add_f32_e32 v10, v10, v11
	v_exp_f32_e32 v10, v10
	v_cvt_i32_f32_e32 v11, v12
	v_cmp_ngt_f32_e32 vcc, s0, v7
	s_nop 1
	v_cndmask_b32_e32 v6, 0, v6, vcc
	v_cmp_nlt_f32_e32 vcc, s1, v7
	v_mul_f32_e32 v7, v1, v9
	v_mul_f32_e32 v9, 0x3fb8aa3b, v7
	v_cndmask_b32_e32 v61, v32, v6, vcc
	v_ldexp_f32 v6, v10, v11
	v_fma_f32 v10, v7, s2, -v9
	v_rndne_f32_e32 v11, v9
	v_fmac_f32_e32 v10, 0x32a5705f, v7
	v_sub_f32_e32 v9, v9, v11
	v_add_f32_e32 v9, v9, v10
	v_exp_f32_e32 v9, v9
	v_cvt_i32_f32_e32 v10, v11
	v_cmp_ngt_f32_e32 vcc, s0, v8
	v_mul_f32_e32 v1, v1, v5
	s_nop 0
	v_cndmask_b32_e32 v6, 0, v6, vcc
	v_cmp_nlt_f32_e32 vcc, s1, v8
	v_mul_f32_e32 v8, 0x3fb8aa3b, v2
	s_nop 0
	v_cndmask_b32_e32 v62, v32, v6, vcc
	v_ldexp_f32 v6, v9, v10
	v_fma_f32 v9, v2, s2, -v8
	v_rndne_f32_e32 v10, v8
	v_fmac_f32_e32 v9, 0x32a5705f, v2
	v_sub_f32_e32 v8, v8, v10
	v_add_f32_e32 v8, v8, v9
	v_exp_f32_e32 v8, v8
	v_cvt_i32_f32_e32 v9, v10
	v_cmp_ngt_f32_e32 vcc, s0, v7
	s_nop 1
	v_cndmask_b32_e32 v6, 0, v6, vcc
	v_cmp_nlt_f32_e32 vcc, s1, v7
	v_mul_f32_e32 v7, 0x3fb8aa3b, v3
	s_nop 0
	v_cndmask_b32_e32 v63, v32, v6, vcc
	v_ldexp_f32 v6, v8, v9
	v_fma_f32 v8, v3, s2, -v7
	v_rndne_f32_e32 v9, v7
	v_fmac_f32_e32 v8, 0x32a5705f, v3
	v_sub_f32_e32 v7, v7, v9
	v_add_f32_e32 v7, v7, v8
	v_exp_f32_e32 v33, v7
	v_cvt_i32_f32_e32 v44, v9
	v_cmp_ngt_f32_e32 vcc, s0, v2
	s_nop 1
	v_cndmask_b32_e32 v6, 0, v6, vcc
	v_cmp_nlt_f32_e32 vcc, s1, v2
	v_ldexp_f32 v2, v33, v44
	v_mul_f32_e32 v33, 0x3fb8aa3b, v4
	v_fma_f32 v44, v4, s2, -v33
	v_rndne_f32_e32 v45, v33
	v_fmac_f32_e32 v44, 0x32a5705f, v4
	v_sub_f32_e32 v33, v33, v45
	v_add_f32_e32 v33, v33, v44
	v_exp_f32_e32 v33, v33
	v_cvt_i32_f32_e32 v44, v45
	v_cndmask_b32_e32 v64, v32, v6, vcc
	v_cmp_ngt_f32_e32 vcc, s0, v3
	ds_read_b128 v[6:9], v48 offset:96
	ds_read_b128 v[10:13], v48 offset:112
	v_cndmask_b32_e32 v2, 0, v2, vcc
	v_cmp_nlt_f32_e32 vcc, s1, v3
	v_mul_f32_e32 v3, 0x3fb8aa3b, v1
	v_fma_f32 v5, v1, s2, -v3
	v_cndmask_b32_e32 v65, v32, v2, vcc
	v_ldexp_f32 v2, v33, v44
	v_rndne_f32_e32 v33, v3
	v_fmac_f32_e32 v5, 0x32a5705f, v1
	v_sub_f32_e32 v3, v3, v33
	v_add_f32_e32 v3, v3, v5
	v_exp_f32_e32 v3, v3
	v_cvt_i32_f32_e32 v5, v33
	v_cmp_ngt_f32_e32 vcc, s0, v4
	s_nop 1
	v_cndmask_b32_e32 v2, 0, v2, vcc
	v_cmp_nlt_f32_e32 vcc, s1, v4
	s_nop 1
	v_cndmask_b32_e32 v66, v32, v2, vcc
	v_ldexp_f32 v2, v3, v5
	v_cmp_ngt_f32_e32 vcc, s0, v1
	s_nop 1
	v_cndmask_b32_e32 v2, 0, v2, vcc
	v_cmp_nlt_f32_e32 vcc, s1, v1
	s_ashr_i64 s[0:1], s[6:7], 29
	v_lshl_add_u64 v[68:69], v[22:23], 0, s[0:1]
	v_cndmask_b32_e32 v67, v32, v2, vcc
	ds_read_b128 v[2:5], v48
	s_add_u32 s0, s3, s36
	s_addc_u32 s1, s4, s33
	v_lshl_add_u64 v[70:71], v[34:35], 2, s[0:1]
	ds_read_b128 v[32:35], v48 offset:16
	ds_read_b128 v[44:47], v48 offset:32
	;; [unrolled: 1-line block ×3, first 2 shown]
	s_waitcnt lgkmcnt(3)
	v_pk_mul_f32 v[2:3], v[0:1], v[2:3] op_sel_hi:[0,1]
	v_pk_fma_f32 v[2:3], v[26:27], v[52:53], v[2:3]
	v_pk_mul_f32 v[4:5], v[0:1], v[4:5] op_sel_hi:[0,1]
	v_fma_f32 v26, v14, v2, 0
	v_fmac_f32_e32 v26, v15, v3
	v_pk_fma_f32 v[4:5], v[24:25], v[54:55], v[4:5]
	s_waitcnt lgkmcnt(2)
	v_pk_mul_f32 v[14:15], v[0:1], v[32:33] op_sel_hi:[0,1]
	v_fmac_f32_e32 v26, v16, v4
	v_fmac_f32_e32 v26, v17, v5
	v_pk_fma_f32 v[14:15], v[28:29], v[56:57], v[14:15]
	v_pk_mul_f32 v[16:17], v[0:1], v[34:35] op_sel_hi:[0,1]
	v_fmac_f32_e32 v26, v36, v14
	v_fmac_f32_e32 v26, v37, v15
	v_pk_fma_f32 v[16:17], v[30:31], v[58:59], v[16:17]
	s_waitcnt lgkmcnt(1)
	v_pk_mul_f32 v[22:23], v[0:1], v[44:45] op_sel_hi:[0,1]
	v_fmac_f32_e32 v26, v38, v16
	v_fmac_f32_e32 v26, v39, v17
	v_pk_fma_f32 v[22:23], v[40:41], v[60:61], v[22:23]
	s_nop 0
	v_fmac_f32_e32 v26, v6, v22
	v_fmac_f32_e32 v26, v7, v23
	v_pk_mul_f32 v[6:7], v[0:1], v[46:47] op_sel_hi:[0,1]
	v_pk_fma_f32 v[24:25], v[42:43], v[62:63], v[6:7]
	s_waitcnt lgkmcnt(0)
	v_pk_mul_f32 v[6:7], v[0:1], v[48:49] op_sel_hi:[0,1]
	v_fmac_f32_e32 v26, v8, v24
	v_fmac_f32_e32 v26, v9, v25
	v_pk_fma_f32 v[6:7], v[18:19], v[64:65], v[6:7]
	v_pk_mul_f32 v[0:1], v[0:1], v[50:51] op_sel_hi:[0,1]
	v_fmac_f32_e32 v26, v10, v6
	v_fmac_f32_e32 v26, v11, v7
	v_pk_fma_f32 v[8:9], v[20:21], v[66:67], v[0:1]
	s_nop 0
	v_fmac_f32_e32 v26, v12, v8
	v_fmac_f32_e32 v26, v13, v9
	global_store_dword v[68:69], v26, off
	s_barrier
	global_store_dwordx4 v[70:71], v[2:5], off
	global_store_dwordx4 v[70:71], v[14:17], off offset:16
	global_store_dwordx4 v[70:71], v[22:25], off offset:32
	;; [unrolled: 1-line block ×3, first 2 shown]
	s_endpgm
	.section	.rodata,"a",@progbits
	.p2align	6, 0x0
	.amdhsa_kernel _Z12ssm_scan_f32ILm128ELm16ELm3EEvPKfS1_S1_S1_S1_S1_PKiPfiiiiiiiiiiilll
		.amdhsa_group_segment_fixed_size 128
		.amdhsa_private_segment_fixed_size 0
		.amdhsa_kernarg_size 136
		.amdhsa_user_sgpr_count 2
		.amdhsa_user_sgpr_dispatch_ptr 0
		.amdhsa_user_sgpr_queue_ptr 0
		.amdhsa_user_sgpr_kernarg_segment_ptr 1
		.amdhsa_user_sgpr_dispatch_id 0
		.amdhsa_user_sgpr_kernarg_preload_length 0
		.amdhsa_user_sgpr_kernarg_preload_offset 0
		.amdhsa_user_sgpr_private_segment_size 0
		.amdhsa_uses_dynamic_stack 0
		.amdhsa_enable_private_segment 0
		.amdhsa_system_sgpr_workgroup_id_x 1
		.amdhsa_system_sgpr_workgroup_id_y 1
		.amdhsa_system_sgpr_workgroup_id_z 0
		.amdhsa_system_sgpr_workgroup_info 0
		.amdhsa_system_vgpr_workitem_id 0
		.amdhsa_next_free_vgpr 86
		.amdhsa_next_free_sgpr 37
		.amdhsa_accum_offset 88
		.amdhsa_reserve_vcc 1
		.amdhsa_float_round_mode_32 0
		.amdhsa_float_round_mode_16_64 0
		.amdhsa_float_denorm_mode_32 3
		.amdhsa_float_denorm_mode_16_64 3
		.amdhsa_dx10_clamp 1
		.amdhsa_ieee_mode 1
		.amdhsa_fp16_overflow 0
		.amdhsa_tg_split 0
		.amdhsa_exception_fp_ieee_invalid_op 0
		.amdhsa_exception_fp_denorm_src 0
		.amdhsa_exception_fp_ieee_div_zero 0
		.amdhsa_exception_fp_ieee_overflow 0
		.amdhsa_exception_fp_ieee_underflow 0
		.amdhsa_exception_fp_ieee_inexact 0
		.amdhsa_exception_int_div_zero 0
	.end_amdhsa_kernel
	.section	.text._Z12ssm_scan_f32ILm128ELm16ELm3EEvPKfS1_S1_S1_S1_S1_PKiPfiiiiiiiiiiilll,"axG",@progbits,_Z12ssm_scan_f32ILm128ELm16ELm3EEvPKfS1_S1_S1_S1_S1_PKiPfiiiiiiiiiiilll,comdat
.Lfunc_end4:
	.size	_Z12ssm_scan_f32ILm128ELm16ELm3EEvPKfS1_S1_S1_S1_S1_PKiPfiiiiiiiiiiilll, .Lfunc_end4-_Z12ssm_scan_f32ILm128ELm16ELm3EEvPKfS1_S1_S1_S1_S1_PKiPfiiiiiiiiiiilll
                                        ; -- End function
	.set _Z12ssm_scan_f32ILm128ELm16ELm3EEvPKfS1_S1_S1_S1_S1_PKiPfiiiiiiiiiiilll.num_vgpr, 86
	.set _Z12ssm_scan_f32ILm128ELm16ELm3EEvPKfS1_S1_S1_S1_S1_PKiPfiiiiiiiiiiilll.num_agpr, 0
	.set _Z12ssm_scan_f32ILm128ELm16ELm3EEvPKfS1_S1_S1_S1_S1_PKiPfiiiiiiiiiiilll.numbered_sgpr, 37
	.set _Z12ssm_scan_f32ILm128ELm16ELm3EEvPKfS1_S1_S1_S1_S1_PKiPfiiiiiiiiiiilll.num_named_barrier, 0
	.set _Z12ssm_scan_f32ILm128ELm16ELm3EEvPKfS1_S1_S1_S1_S1_PKiPfiiiiiiiiiiilll.private_seg_size, 0
	.set _Z12ssm_scan_f32ILm128ELm16ELm3EEvPKfS1_S1_S1_S1_S1_PKiPfiiiiiiiiiiilll.uses_vcc, 1
	.set _Z12ssm_scan_f32ILm128ELm16ELm3EEvPKfS1_S1_S1_S1_S1_PKiPfiiiiiiiiiiilll.uses_flat_scratch, 0
	.set _Z12ssm_scan_f32ILm128ELm16ELm3EEvPKfS1_S1_S1_S1_S1_PKiPfiiiiiiiiiiilll.has_dyn_sized_stack, 0
	.set _Z12ssm_scan_f32ILm128ELm16ELm3EEvPKfS1_S1_S1_S1_S1_PKiPfiiiiiiiiiiilll.has_recursion, 0
	.set _Z12ssm_scan_f32ILm128ELm16ELm3EEvPKfS1_S1_S1_S1_S1_PKiPfiiiiiiiiiiilll.has_indirect_call, 0
	.section	.AMDGPU.csdata,"",@progbits
; Kernel info:
; codeLenInByte = 8468
; TotalNumSgprs: 43
; NumVgprs: 86
; NumAgprs: 0
; TotalNumVgprs: 86
; ScratchSize: 0
; MemoryBound: 0
; FloatMode: 240
; IeeeMode: 1
; LDSByteSize: 128 bytes/workgroup (compile time only)
; SGPRBlocks: 5
; VGPRBlocks: 10
; NumSGPRsForWavesPerEU: 43
; NumVGPRsForWavesPerEU: 86
; AccumOffset: 88
; Occupancy: 5
; WaveLimiterHint : 1
; COMPUTE_PGM_RSRC2:SCRATCH_EN: 0
; COMPUTE_PGM_RSRC2:USER_SGPR: 2
; COMPUTE_PGM_RSRC2:TRAP_HANDLER: 0
; COMPUTE_PGM_RSRC2:TGID_X_EN: 1
; COMPUTE_PGM_RSRC2:TGID_Y_EN: 1
; COMPUTE_PGM_RSRC2:TGID_Z_EN: 0
; COMPUTE_PGM_RSRC2:TIDIG_COMP_CNT: 0
; COMPUTE_PGM_RSRC3_GFX90A:ACCUM_OFFSET: 21
; COMPUTE_PGM_RSRC3_GFX90A:TG_SPLIT: 0
	.section	.text._Z12ssm_scan_f32ILm128ELm16ELm4EEvPKfS1_S1_S1_S1_S1_PKiPfiiiiiiiiiiilll,"axG",@progbits,_Z12ssm_scan_f32ILm128ELm16ELm4EEvPKfS1_S1_S1_S1_S1_PKiPfiiiiiiiiiiilll,comdat
	.protected	_Z12ssm_scan_f32ILm128ELm16ELm4EEvPKfS1_S1_S1_S1_S1_PKiPfiiiiiiiiiiilll ; -- Begin function _Z12ssm_scan_f32ILm128ELm16ELm4EEvPKfS1_S1_S1_S1_S1_PKiPfiiiiiiiiiiilll
	.globl	_Z12ssm_scan_f32ILm128ELm16ELm4EEvPKfS1_S1_S1_S1_S1_PKiPfiiiiiiiiiiilll
	.p2align	8
	.type	_Z12ssm_scan_f32ILm128ELm16ELm4EEvPKfS1_S1_S1_S1_S1_PKiPfiiiiiiiiiiilll,@function
_Z12ssm_scan_f32ILm128ELm16ELm4EEvPKfS1_S1_S1_S1_S1_PKiPfiiiiiiiiiiilll: ; @_Z12ssm_scan_f32ILm128ELm16ELm4EEvPKfS1_S1_S1_S1_S1_PKiPfiiiiiiiiiiilll
; %bb.0:
	s_load_dwordx16 s[4:19], s[0:1], 0x0
	s_load_dwordx8 s[20:27], s[0:1], 0x40
	s_mov_b32 s34, s3
	s_mov_b32 s3, 0
	s_lshl_b64 s[28:29], s[2:3], 2
	s_waitcnt lgkmcnt(0)
	s_add_u32 s16, s16, s28
	s_addc_u32 s17, s17, s29
	s_load_dword s16, s[16:17], 0x0
	v_mov_b32_e32 v35, 0
	s_mov_b32 s35, s3
	v_cmp_gt_u32_e32 vcc, 16, v0
	v_mov_b32_e32 v1, v35
	s_waitcnt lgkmcnt(0)
	s_mul_i32 s16, s16, s21
	s_ashr_i32 s17, s16, 31
	s_add_u32 s4, s4, s16
	s_addc_u32 s5, s5, s17
	s_lshl_b32 s16, s34, 7
	s_ashr_i32 s17, s20, 31
	s_mul_i32 s17, s16, s17
	s_mul_hi_u32 s28, s16, s20
	s_add_i32 s17, s28, s17
	s_lshr_b32 s28, s34, 25
	s_mul_i32 s29, s28, s20
	s_add_i32 s33, s17, s29
	s_mul_i32 s36, s16, s20
	s_add_u32 s4, s4, s36
	s_addc_u32 s5, s5, s33
	s_ashr_i32 s17, s26, 31
	s_mul_i32 s17, s16, s17
	s_mul_hi_u32 s29, s16, s26
	s_add_i32 s17, s29, s17
	s_mul_i32 s28, s28, s26
	s_add_i32 s17, s17, s28
	s_mul_i32 s16, s16, s26
	s_add_u32 s10, s10, s16
	s_addc_u32 s11, s11, s17
	s_ashr_i32 s17, s26, 2
	s_ashr_i32 s16, s20, 2
	v_mul_lo_u32 v34, s17, v0
	v_lshl_add_u64 v[36:37], v[34:35], 2, s[10:11]
	v_mul_lo_u32 v34, s16, v0
	v_lshl_add_u64 v[38:39], v[34:35], 2, s[4:5]
	global_load_dwordx4 v[2:5], v[36:37], off offset:48
	global_load_dwordx4 v[6:9], v[36:37], off offset:32
	;; [unrolled: 1-line block ×3, first 2 shown]
	global_load_dwordx4 v[14:17], v[36:37], off
	global_load_dwordx4 v[18:21], v[38:39], off offset:48
	global_load_dwordx4 v[22:25], v[38:39], off offset:32
	;; [unrolled: 1-line block ×3, first 2 shown]
	global_load_dwordx4 v[30:33], v[38:39], off
	s_load_dwordx4 s[28:31], s[0:1], 0x60
	v_lshlrev_b32_e32 v0, 2, v0
	v_add_u32_e32 v63, 64, v0
	s_waitcnt lgkmcnt(0)
	s_mul_i32 s3, s28, s2
	s_add_u32 s4, s12, s3
	s_mul_i32 s10, s30, s2
	s_addc_u32 s5, s13, 0
	s_add_u32 s10, s14, s10
	s_addc_u32 s11, s15, 0
	v_lshl_add_u64 v[38:39], s[4:5], 0, v[0:1]
	v_lshl_add_u64 v[36:37], s[10:11], 0, v[0:1]
	s_and_saveexec_b64 s[4:5], vcc
	s_cbranch_execz .LBB5_2
; %bb.1:
	global_load_dword v40, v[38:39], off
	global_load_dword v41, v[36:37], off
	s_waitcnt vmcnt(1)
	ds_write_b32 v0, v40
	s_waitcnt vmcnt(0)
	ds_write_b32 v63, v41
.LBB5_2:
	s_or_b64 exec, exec, s[4:5]
	s_lshl_b64 s[12:13], s[34:35], 9
	s_mul_i32 s3, s25, s2
	s_add_u32 s3, s8, s3
	s_addc_u32 s4, s9, 0
	s_add_u32 s14, s3, s12
	s_addc_u32 s15, s4, s13
	s_waitcnt lgkmcnt(0)
	s_barrier
	global_load_dword v47, v0, s[14:15]
	s_mov_b32 s3, 0x41a00000
	s_waitcnt vmcnt(0)
	v_cmp_ge_f32_e64 s[4:5], s3, v47
	s_and_saveexec_b64 s[8:9], s[4:5]
	s_cbranch_execz .LBB5_4
; %bb.3:
	v_mul_f32_e32 v40, 0x3fb8aa3b, v47
	s_mov_b32 s3, 0x3fb8aa3b
	v_rndne_f32_e32 v41, v40
	v_sub_f32_e32 v42, v40, v41
	v_fma_f32 v40, v47, s3, -v40
	v_fmamk_f32 v40, v47, 0x32a5705f, v40
	v_add_f32_e32 v40, v42, v40
	v_exp_f32_e32 v40, v40
	v_cvt_i32_f32_e32 v41, v41
	s_mov_b32 s3, 0xc2ce8ed0
	v_cmp_ngt_f32_e64 s[4:5], s3, v47
	s_mov_b32 s3, 0x42b17218
	v_ldexp_f32 v40, v40, v41
	v_cndmask_b32_e64 v40, 0, v40, s[4:5]
	v_mov_b32_e32 v54, 0x7f800000
	v_cmp_nlt_f32_e64 s[4:5], s3, v47
	s_mov_b32 s3, 0x3f2aaaab
	s_mov_b32 s10, 0x7f800000
	v_cndmask_b32_e64 v55, v54, v40, s[4:5]
	v_add_f32_e32 v42, 1.0, v55
	v_add_f32_e32 v40, -1.0, v42
	v_sub_f32_e32 v41, v40, v42
	v_add_f32_e32 v41, 1.0, v41
	v_sub_f32_e32 v40, v55, v40
	v_add_f32_e32 v43, v40, v41
	v_frexp_mant_f32_e32 v44, v42
	v_cvt_f64_f32_e32 v[40:41], v42
	v_frexp_exp_i32_f64_e32 v40, v[40:41]
	v_cmp_gt_f32_e64 s[4:5], s3, v44
	s_mov_b32 s3, 0x3f317218
	s_nop 0
	v_subbrev_co_u32_e64 v48, s[4:5], 0, v40, s[4:5]
	v_sub_u32_e32 v40, 0, v48
	v_ldexp_f32 v41, v42, v40
	v_add_f32_e32 v42, -1.0, v41
	v_add_f32_e32 v44, 1.0, v41
	v_ldexp_f32 v40, v43, v40
	v_add_f32_e32 v43, 1.0, v42
	v_add_f32_e32 v45, -1.0, v44
	v_sub_f32_e32 v43, v41, v43
	v_sub_f32_e32 v41, v41, v45
	v_add_f32_e32 v43, v40, v43
	v_add_f32_e32 v40, v40, v41
	;; [unrolled: 1-line block ×3, first 2 shown]
	v_rcp_f32_e32 v51, v49
	v_sub_f32_e32 v41, v44, v49
	v_add_f32_e32 v50, v40, v41
	v_add_f32_e32 v41, v42, v43
	v_mul_f32_e32 v53, v41, v51
	v_sub_f32_e32 v40, v42, v41
	v_mul_f32_e32 v42, v49, v53
	v_fma_f32 v44, v53, v49, -v42
	v_fmac_f32_e32 v44, v53, v50
	v_add_f32_e32 v52, v43, v40
	v_add_f32_e32 v40, v42, v44
	v_sub_f32_e32 v43, v41, v40
	v_pk_add_f32 v[46:47], v[40:41], v[42:43] neg_lo:[0,1] neg_hi:[0,1]
	v_mov_b32_e32 v45, v40
	v_pk_add_f32 v[40:41], v[46:47], v[44:45] neg_lo:[0,1] neg_hi:[0,1]
	v_cmp_neq_f32_e64 s[4:5], s10, v55
	v_add_f32_e32 v41, v52, v41
	v_add_f32_e32 v40, v40, v41
	;; [unrolled: 1-line block ×3, first 2 shown]
	v_mul_f32_e32 v52, v51, v41
	v_mul_f32_e32 v42, v49, v52
	v_fma_f32 v44, v52, v49, -v42
	v_fmac_f32_e32 v44, v52, v50
	v_sub_f32_e32 v43, v43, v41
	v_add_f32_e32 v49, v40, v43
	v_add_f32_e32 v40, v42, v44
	v_sub_f32_e32 v43, v41, v40
	v_pk_add_f32 v[46:47], v[40:41], v[42:43] neg_lo:[0,1] neg_hi:[0,1]
	v_mov_b32_e32 v45, v40
	v_pk_add_f32 v[40:41], v[46:47], v[44:45] neg_lo:[0,1] neg_hi:[0,1]
	v_cvt_f32_i32_e32 v42, v48
	v_add_f32_e32 v41, v49, v41
	v_add_f32_e32 v40, v40, v41
	;; [unrolled: 1-line block ×4, first 2 shown]
	v_sub_f32_e32 v41, v43, v53
	v_mul_f32_e32 v40, v51, v40
	v_sub_f32_e32 v41, v52, v41
	v_add_f32_e32 v40, v41, v40
	v_add_f32_e32 v44, v43, v40
	v_mul_f32_e32 v46, v44, v44
	v_mov_b32_e32 v41, 0x3ecc95a3
	v_sub_f32_e32 v43, v44, v43
	v_fmac_f32_e32 v41, 0x3e9b6dac, v46
	v_sub_f32_e32 v40, v40, v43
	v_fmaak_f32 v41, v46, v41, 0x3f2aaada
	v_ldexp_f32 v47, v40, 1
	v_mul_f32_e32 v43, v44, v46
	v_mov_b32_e32 v40, 0x3f317218
	v_pk_mul_f32 v[40:41], v[42:43], v[40:41]
	v_ldexp_f32 v45, v44, 1
	v_fma_f32 v43, v42, s3, -v40
	v_fmamk_f32 v44, v42, 0xb102e308, v43
	v_pk_add_f32 v[42:43], v[40:41], v[44:45]
	v_mov_b32_e32 v46, v40
	v_sub_f32_e32 v45, v43, v45
	v_sub_f32_e32 v45, v41, v45
	v_add_f32_e32 v47, v47, v45
	v_pk_add_f32 v[40:41], v[42:43], v[40:41] neg_lo:[0,1] neg_hi:[0,1]
	v_pk_add_f32 v[48:49], v[42:43], v[46:47]
	v_mov_b32_e32 v45, v42
	v_mov_b32_e32 v41, v49
	v_pk_add_f32 v[50:51], v[44:45], v[40:41] neg_lo:[0,1] neg_hi:[0,1]
	v_pk_add_f32 v[40:41], v[44:45], v[40:41]
	v_mov_b32_e32 v46, v47
	v_pk_add_f32 v[44:45], v[40:41], v[42:43] op_sel:[1,0] op_sel_hi:[0,1] neg_lo:[0,1] neg_hi:[0,1]
	v_pk_add_f32 v[52:53], v[48:49], v[44:45] op_sel_hi:[1,0] neg_lo:[0,1] neg_hi:[0,1]
	v_mov_b32_e32 v48, v49
	v_mov_b32_e32 v49, v41
	v_pk_mov_b32 v[44:45], v[42:43], v[44:45] op_sel:[1,0]
	v_mov_b32_e32 v47, v42
	v_pk_add_f32 v[44:45], v[48:49], v[44:45] neg_lo:[0,1] neg_hi:[0,1]
	v_mov_b32_e32 v52, v50
	v_pk_add_f32 v[42:43], v[46:47], v[44:45] neg_lo:[0,1] neg_hi:[0,1]
	v_mov_b32_e32 v51, v41
	v_pk_add_f32 v[44:45], v[52:53], v[42:43]
	s_mov_b32 s3, 0x33800000
	v_pk_add_f32 v[46:47], v[44:45], v[44:45] op_sel:[0,1] op_sel_hi:[1,0]
	s_nop 0
	v_pk_add_f32 v[40:41], v[40:41], v[46:47] op_sel:[1,0] op_sel_hi:[0,1]
	v_mov_b32_e32 v45, v40
	v_pk_add_f32 v[48:49], v[44:45], v[50:51] neg_lo:[0,1] neg_hi:[0,1]
	v_mov_b32_e32 v43, v46
	v_sub_f32_e32 v41, v44, v48
	v_pk_add_f32 v[42:43], v[42:43], v[48:49] neg_lo:[0,1] neg_hi:[0,1]
	v_sub_f32_e32 v41, v50, v41
	v_add_f32_e32 v41, v42, v41
	v_add_f32_e32 v41, v41, v43
	;; [unrolled: 1-line block ×3, first 2 shown]
	v_cndmask_b32_e64 v40, v54, v40, s[4:5]
	v_cmp_gt_f32_e64 s[4:5], s3, v55
	s_nop 1
	v_cndmask_b32_e64 v47, v40, v55, s[4:5]
.LBB5_4:
	s_or_b64 exec, exec, s[8:9]
	s_load_dwordx4 s[8:11], s[0:1], 0x70
	s_mul_i32 s3, s23, s2
	v_mul_f32_e32 v49, v47, v14
	v_lshl_add_u64 v[44:45], s[14:15], 0, v[0:1]
	s_mov_b32 s15, 0x3fb8aa3b
	s_waitcnt lgkmcnt(0)
	s_mul_i32 s1, s2, s11
	s_mul_hi_u32 s4, s2, s10
	s_mul_i32 s0, s2, s10
	s_add_i32 s1, s4, s1
	s_lshl_b64 s[0:1], s[0:1], 4
	s_add_u32 s5, s18, s0
	s_addc_u32 s20, s19, s1
	s_ashr_i32 s4, s27, 2
	s_add_u32 s0, s6, s3
	s_addc_u32 s1, s7, 0
	s_add_u32 s16, s0, s12
	s_addc_u32 s17, s1, s13
	global_load_dword v46, v0, s[16:17]
	v_mul_f32_e32 v62, v47, v15
	v_mul_f32_e32 v64, 0x3fb8aa3b, v49
	v_mul_f32_e32 v66, v47, v16
	v_mul_f32_e32 v65, 0x3fb8aa3b, v62
	v_fma_f32 v73, v49, s15, -v64
	v_rndne_f32_e32 v74, v64
	v_mul_f32_e32 v67, v47, v17
	v_mul_f32_e32 v70, 0x3fb8aa3b, v66
	v_fma_f32 v75, v62, s15, -v65
	v_rndne_f32_e32 v76, v65
	v_fmac_f32_e32 v73, 0x32a5705f, v49
	v_sub_f32_e32 v64, v64, v74
	v_mul_f32_e32 v71, 0x3fb8aa3b, v67
	v_fma_f32 v77, v66, s15, -v70
	v_rndne_f32_e32 v78, v70
	v_fmac_f32_e32 v75, 0x32a5705f, v62
	v_sub_f32_e32 v65, v65, v76
	v_add_f32_e32 v64, v64, v73
	v_fma_f32 v79, v67, s15, -v71
	v_rndne_f32_e32 v80, v71
	v_cvt_i32_f32_e32 v74, v74
	v_fmac_f32_e32 v77, 0x32a5705f, v66
	v_sub_f32_e32 v70, v70, v78
	v_add_f32_e32 v65, v65, v75
	v_exp_f32_e32 v64, v64
	v_cvt_i32_f32_e32 v76, v76
	v_fmac_f32_e32 v79, 0x32a5705f, v67
	v_sub_f32_e32 v71, v71, v80
	v_add_f32_e32 v70, v70, v77
	v_exp_f32_e32 v65, v65
	v_cvt_i32_f32_e32 v78, v78
	v_add_f32_e32 v71, v71, v79
	v_exp_f32_e32 v70, v70
	s_mov_b32 s3, 0xc2ce8ed0
	v_cvt_i32_f32_e32 v80, v80
	v_exp_f32_e32 v71, v71
	v_ldexp_f32 v64, v64, v74
	v_cmp_ngt_f32_e64 s[0:1], s3, v49
	v_ldexp_f32 v65, v65, v76
	v_ldexp_f32 v70, v70, v78
	v_cndmask_b32_e64 v64, 0, v64, s[0:1]
	v_cmp_ngt_f32_e64 s[0:1], s3, v62
	s_mov_b32 s14, 0x42b17218
	v_ldexp_f32 v71, v71, v80
	v_cndmask_b32_e64 v65, 0, v65, s[0:1]
	v_cmp_ngt_f32_e64 s[0:1], s3, v66
	v_mov_b32_e32 v1, 0
	v_mov_b32_e32 v48, 0x7f800000
	v_cndmask_b32_e64 v70, 0, v70, s[0:1]
	v_cmp_ngt_f32_e64 s[0:1], s3, v67
	v_mul_f32_e32 v68, v47, v10
	ds_read_b128 v[40:43], v1
	ds_read_b128 v[50:53], v1 offset:16
	ds_read_b128 v[54:57], v1 offset:64
	;; [unrolled: 1-line block ×3, first 2 shown]
	v_cndmask_b32_e64 v71, 0, v71, s[0:1]
	v_cmp_nlt_f32_e64 s[0:1], s14, v49
	v_mul_f32_e32 v72, 0x3fb8aa3b, v68
	v_mul_f32_e32 v69, v47, v11
	v_cndmask_b32_e64 v64, v48, v64, s[0:1]
	v_cmp_nlt_f32_e64 s[0:1], s14, v62
	v_fma_f32 v81, v68, s15, -v72
	v_rndne_f32_e32 v82, v72
	v_cndmask_b32_e64 v65, v48, v65, s[0:1]
	v_cmp_nlt_f32_e64 s[0:1], s14, v66
	v_fmac_f32_e32 v81, 0x32a5705f, v68
	v_sub_f32_e32 v72, v72, v82
	v_cndmask_b32_e64 v66, v48, v70, s[0:1]
	v_cmp_nlt_f32_e64 s[0:1], s14, v67
	v_add_f32_e32 v72, v72, v81
	v_cvt_i32_f32_e32 v82, v82
	v_cndmask_b32_e64 v67, v48, v71, s[0:1]
	v_exp_f32_e32 v72, v72
	v_cmp_ngt_f32_e64 s[0:1], s3, v68
	s_add_u32 s12, s5, s12
	s_addc_u32 s13, s20, s13
	v_ldexp_f32 v72, v72, v82
	s_ashr_i32 s6, s29, 2
	s_ashr_i32 s5, s4, 31
	;; [unrolled: 1-line block ×3, first 2 shown]
	s_waitcnt vmcnt(0)
	v_mul_f32_e32 v46, v47, v46
	s_waitcnt lgkmcnt(3)
	v_pk_mul_f32 v[40:41], v[46:47], v[40:41] op_sel_hi:[0,1]
	v_pk_mul_f32 v[42:43], v[46:47], v[42:43] op_sel_hi:[0,1]
	v_pk_fma_f32 v[40:41], v[30:31], v[64:65], v[40:41]
	v_mul_f32_e32 v30, 0x3fb8aa3b, v69
	v_pk_fma_f32 v[42:43], v[32:33], v[66:67], v[42:43]
	v_fma_f32 v31, v69, s15, -v30
	v_rndne_f32_e32 v32, v30
	v_fmac_f32_e32 v31, 0x32a5705f, v69
	v_sub_f32_e32 v30, v30, v32
	v_add_f32_e32 v30, v30, v31
	v_exp_f32_e32 v31, v30
	v_cvt_i32_f32_e32 v32, v32
	v_cndmask_b32_e64 v30, 0, v72, s[0:1]
	v_cmp_nlt_f32_e64 s[0:1], s14, v68
	s_waitcnt lgkmcnt(1)
	v_fma_f32 v49, v54, v40, 0
	v_ldexp_f32 v31, v31, v32
	v_cndmask_b32_e64 v30, v48, v30, s[0:1]
	v_cmp_ngt_f32_e64 s[0:1], s3, v69
	v_fmac_f32_e32 v49, v55, v41
	v_fmac_f32_e32 v49, v56, v42
	v_cndmask_b32_e64 v31, 0, v31, s[0:1]
	v_cmp_nlt_f32_e64 s[0:1], s14, v69
	v_pk_mul_f32 v[32:33], v[46:47], v[50:51] op_sel_hi:[0,1]
	v_mul_f32_e32 v56, v47, v12
	v_cndmask_b32_e64 v31, v48, v31, s[0:1]
	v_pk_fma_f32 v[26:27], v[26:27], v[30:31], v[32:33]
	v_mul_f32_e32 v32, 0x3fb8aa3b, v56
	v_fma_f32 v33, v56, s15, -v32
	v_rndne_f32_e32 v50, v32
	v_fmac_f32_e32 v49, v57, v43
	v_fmac_f32_e32 v33, 0x32a5705f, v56
	v_sub_f32_e32 v32, v32, v50
	v_mul_f32_e32 v57, v47, v13
	v_add_f32_e32 v32, v32, v33
	v_cvt_i32_f32_e32 v33, v50
	v_mul_f32_e32 v50, 0x3fb8aa3b, v57
	v_fma_f32 v51, v57, s15, -v50
	v_rndne_f32_e32 v54, v50
	v_fmac_f32_e32 v51, 0x32a5705f, v57
	v_sub_f32_e32 v50, v50, v54
	v_add_f32_e32 v50, v50, v51
	v_exp_f32_e32 v50, v50
	v_cvt_i32_f32_e32 v51, v54
	v_exp_f32_e32 v32, v32
	s_waitcnt lgkmcnt(0)
	v_pk_mul_f32 v[30:31], v[58:59], v[26:27]
	v_cmp_ngt_f32_e64 s[0:1], s3, v57
	v_add_f32_e32 v30, v49, v30
	v_add_f32_e32 v49, v30, v31
	v_ldexp_f32 v30, v50, v51
	v_ldexp_f32 v58, v32, v33
	v_cndmask_b32_e64 v59, 0, v30, s[0:1]
	v_cmp_ngt_f32_e64 s[0:1], s3, v56
	v_pk_mul_f32 v[54:55], v[46:47], v[52:53] op_sel_hi:[0,1]
	ds_read_b128 v[50:53], v1 offset:32
	ds_read_b128 v[30:33], v1 offset:48
	v_cndmask_b32_e64 v58, 0, v58, s[0:1]
	v_cmp_nlt_f32_e64 s[0:1], s14, v56
	s_waitcnt lgkmcnt(1)
	v_pk_mul_f32 v[50:51], v[46:47], v[50:51] op_sel_hi:[0,1]
	v_cndmask_b32_e64 v56, v48, v58, s[0:1]
	v_cmp_nlt_f32_e64 s[0:1], s14, v57
	s_nop 1
	v_cndmask_b32_e64 v57, v48, v59, s[0:1]
	v_pk_fma_f32 v[28:29], v[28:29], v[56:57], v[54:55]
	v_mul_f32_e32 v56, v47, v6
	v_mul_f32_e32 v54, 0x3fb8aa3b, v56
	v_fma_f32 v55, v56, s15, -v54
	v_rndne_f32_e32 v57, v54
	v_fmac_f32_e32 v55, 0x32a5705f, v56
	v_sub_f32_e32 v54, v54, v57
	v_add_f32_e32 v54, v54, v55
	v_exp_f32_e32 v58, v54
	v_cvt_i32_f32_e32 v57, v57
	v_pk_mul_f32 v[54:55], v[60:61], v[28:29]
	v_mul_f32_e32 v59, v47, v7
	v_add_f32_e32 v49, v49, v54
	v_add_f32_e32 v49, v49, v55
	v_mul_f32_e32 v55, 0x3fb8aa3b, v59
	v_ldexp_f32 v54, v58, v57
	v_fma_f32 v57, v59, s15, -v55
	v_rndne_f32_e32 v58, v55
	v_fmac_f32_e32 v57, 0x32a5705f, v59
	v_sub_f32_e32 v55, v55, v58
	v_add_f32_e32 v55, v55, v57
	v_exp_f32_e32 v55, v55
	v_cvt_i32_f32_e32 v57, v58
	v_cmp_ngt_f32_e64 s[0:1], s3, v56
	s_nop 1
	v_cndmask_b32_e64 v54, 0, v54, s[0:1]
	v_cmp_nlt_f32_e64 s[0:1], s14, v56
	s_nop 1
	v_cndmask_b32_e64 v58, v48, v54, s[0:1]
	v_ldexp_f32 v54, v55, v57
	v_cmp_ngt_f32_e64 s[0:1], s3, v59
	s_nop 1
	v_cndmask_b32_e64 v60, 0, v54, s[0:1]
	ds_read_b128 v[54:57], v1 offset:96
	v_cmp_nlt_f32_e64 s[0:1], s14, v59
	s_nop 1
	v_cndmask_b32_e64 v59, v48, v60, s[0:1]
	v_pk_fma_f32 v[50:51], v[22:23], v[58:59], v[50:51]
	ds_read_b128 v[58:61], v1 offset:112
	s_waitcnt lgkmcnt(1)
	v_pk_mul_f32 v[22:23], v[54:55], v[50:51]
	s_nop 0
	v_add_f32_e32 v22, v49, v22
	v_mul_f32_e32 v49, v47, v8
	v_mul_f32_e32 v54, 0x3fb8aa3b, v49
	v_fma_f32 v55, v49, s15, -v54
	v_rndne_f32_e32 v62, v54
	v_fmac_f32_e32 v55, 0x32a5705f, v49
	v_sub_f32_e32 v54, v54, v62
	v_add_f32_e32 v54, v54, v55
	v_cvt_i32_f32_e32 v55, v62
	v_mul_f32_e32 v62, v47, v9
	v_mul_f32_e32 v64, 0x3fb8aa3b, v62
	v_fma_f32 v65, v62, s15, -v64
	v_rndne_f32_e32 v66, v64
	v_fmac_f32_e32 v65, 0x32a5705f, v62
	v_sub_f32_e32 v64, v64, v66
	v_add_f32_e32 v64, v64, v65
	v_exp_f32_e32 v64, v64
	v_cvt_i32_f32_e32 v65, v66
	v_exp_f32_e32 v54, v54
	v_add_f32_e32 v66, v22, v23
	v_pk_mul_f32 v[22:23], v[46:47], v[52:53] op_sel_hi:[0,1]
	v_ldexp_f32 v53, v64, v65
	v_cmp_ngt_f32_e64 s[0:1], s3, v62
	v_ldexp_f32 v52, v54, v55
	s_nop 0
	v_cndmask_b32_e64 v53, 0, v53, s[0:1]
	v_cmp_ngt_f32_e64 s[0:1], s3, v49
	s_nop 1
	v_cndmask_b32_e64 v52, 0, v52, s[0:1]
	v_cmp_nlt_f32_e64 s[0:1], s14, v49
	s_nop 1
	v_cndmask_b32_e64 v52, v48, v52, s[0:1]
	v_cmp_nlt_f32_e64 s[0:1], s14, v62
	s_nop 1
	v_cndmask_b32_e64 v53, v48, v53, s[0:1]
	v_pk_fma_f32 v[52:53], v[24:25], v[52:53], v[22:23]
	v_mul_f32_e32 v24, v47, v2
	v_mul_f32_e32 v22, 0x3fb8aa3b, v24
	v_fma_f32 v23, v24, s15, -v22
	v_rndne_f32_e32 v25, v22
	v_fmac_f32_e32 v23, 0x32a5705f, v24
	v_sub_f32_e32 v22, v22, v25
	v_add_f32_e32 v22, v22, v23
	v_exp_f32_e32 v49, v22
	v_cvt_i32_f32_e32 v25, v25
	v_pk_mul_f32 v[22:23], v[56:57], v[52:53]
	v_cmp_ngt_f32_e64 s[0:1], s3, v24
	v_add_f32_e32 v22, v66, v22
	v_add_f32_e32 v56, v22, v23
	v_mul_f32_e32 v23, v47, v3
	v_ldexp_f32 v22, v49, v25
	v_mul_f32_e32 v25, 0x3fb8aa3b, v23
	v_fma_f32 v49, v23, s15, -v25
	v_rndne_f32_e32 v54, v25
	v_fmac_f32_e32 v49, 0x32a5705f, v23
	v_sub_f32_e32 v25, v25, v54
	v_add_f32_e32 v25, v25, v49
	v_exp_f32_e32 v25, v25
	v_cvt_i32_f32_e32 v49, v54
	v_cndmask_b32_e64 v22, 0, v22, s[0:1]
	v_cmp_nlt_f32_e64 s[0:1], s14, v24
	v_ldexp_f32 v24, v25, v49
	s_nop 0
	v_cndmask_b32_e64 v22, v48, v22, s[0:1]
	v_cmp_ngt_f32_e64 s[0:1], s3, v23
	s_nop 1
	v_cndmask_b32_e64 v24, 0, v24, s[0:1]
	v_cmp_nlt_f32_e64 s[0:1], s14, v23
	s_nop 1
	v_cndmask_b32_e64 v23, v48, v24, s[0:1]
	v_pk_mul_f32 v[24:25], v[46:47], v[30:31] op_sel_hi:[0,1]
	v_pk_fma_f32 v[54:55], v[18:19], v[22:23], v[24:25]
	v_mul_f32_e32 v22, v47, v4
	v_mul_f32_e32 v18, 0x3fb8aa3b, v22
	v_fma_f32 v19, v22, s15, -v18
	v_rndne_f32_e32 v23, v18
	v_fmac_f32_e32 v19, 0x32a5705f, v22
	v_sub_f32_e32 v18, v18, v23
	v_add_f32_e32 v18, v18, v19
	v_exp_f32_e32 v24, v18
	v_cvt_i32_f32_e32 v23, v23
	s_waitcnt lgkmcnt(0)
	v_pk_mul_f32 v[18:19], v[58:59], v[54:55]
	v_cmp_ngt_f32_e64 s[0:1], s3, v22
	v_add_f32_e32 v18, v56, v18
	v_add_f32_e32 v25, v18, v19
	v_mul_f32_e32 v19, v47, v5
	v_ldexp_f32 v18, v24, v23
	v_mul_f32_e32 v23, 0x3fb8aa3b, v19
	v_fma_f32 v24, v19, s15, -v23
	v_rndne_f32_e32 v30, v23
	v_fmac_f32_e32 v24, 0x32a5705f, v19
	v_sub_f32_e32 v23, v23, v30
	v_add_f32_e32 v23, v23, v24
	v_exp_f32_e32 v23, v23
	v_cvt_i32_f32_e32 v24, v30
	v_cndmask_b32_e64 v18, 0, v18, s[0:1]
	v_cmp_nlt_f32_e64 s[0:1], s14, v22
	v_ldexp_f32 v22, v23, v24
	s_nop 0
	v_cndmask_b32_e64 v18, v48, v18, s[0:1]
	v_cmp_ngt_f32_e64 s[0:1], s3, v19
	s_nop 1
	v_cndmask_b32_e64 v22, 0, v22, s[0:1]
	v_cmp_nlt_f32_e64 s[0:1], s14, v19
	s_nop 1
	v_cndmask_b32_e64 v19, v48, v22, s[0:1]
	v_pk_mul_f32 v[22:23], v[46:47], v[32:33] op_sel_hi:[0,1]
	v_pk_fma_f32 v[56:57], v[20:21], v[18:19], v[22:23]
	s_nop 0
	v_pk_mul_f32 v[18:19], v[60:61], v[56:57]
	s_nop 0
	v_add_f32_e32 v18, v25, v18
	v_add_f32_e32 v18, v18, v19
	global_store_dword v0, v18, s[12:13]
	s_barrier
	s_and_saveexec_b64 s[0:1], vcc
	s_cbranch_execz .LBB5_6
; %bb.5:
	v_lshl_add_u64 v[18:19], s[4:5], 2, v[38:39]
	global_load_dword v20, v[18:19], off
	v_lshl_add_u64 v[18:19], s[6:7], 2, v[36:37]
	global_load_dword v18, v[18:19], off
	s_waitcnt vmcnt(1)
	ds_write_b32 v0, v20
	s_waitcnt vmcnt(0)
	ds_write_b32 v63, v18
.LBB5_6:
	s_or_b64 exec, exec, s[0:1]
	s_ashr_i32 s14, s24, 2
	s_ashr_i32 s15, s14, 31
	v_lshl_add_u64 v[58:59], s[14:15], 2, v[44:45]
	s_waitcnt lgkmcnt(0)
	s_barrier
	global_load_dword v64, v[58:59], off
	s_mov_b32 s0, 0x41a00000
	v_lshl_add_u64 v[18:19], s[16:17], 0, v[0:1]
	v_lshl_add_u64 v[30:31], s[12:13], 0, v[0:1]
	s_waitcnt vmcnt(0)
	v_cmp_ge_f32_e64 s[0:1], s0, v64
	s_and_saveexec_b64 s[12:13], s[0:1]
	s_cbranch_execz .LBB5_8
; %bb.7:
	v_mul_f32_e32 v1, 0x3fb8aa3b, v64
	s_mov_b32 s0, 0x3fb8aa3b
	v_rndne_f32_e32 v20, v1
	v_sub_f32_e32 v21, v1, v20
	v_fma_f32 v1, v64, s0, -v1
	v_fmamk_f32 v1, v64, 0x32a5705f, v1
	v_add_f32_e32 v1, v21, v1
	v_exp_f32_e32 v1, v1
	v_cvt_i32_f32_e32 v20, v20
	s_mov_b32 s0, 0xc2ce8ed0
	v_cmp_ngt_f32_e64 s[0:1], s0, v64
	v_mov_b32_e32 v60, 0x7f800000
	v_ldexp_f32 v1, v1, v20
	v_cndmask_b32_e64 v1, 0, v1, s[0:1]
	s_mov_b32 s0, 0x42b17218
	v_cmp_nlt_f32_e64 s[0:1], s0, v64
	s_mov_b32 s3, 0x7f800000
	s_nop 0
	v_cndmask_b32_e64 v1, v60, v1, s[0:1]
	v_add_f32_e32 v22, 1.0, v1
	v_add_f32_e32 v20, -1.0, v22
	v_sub_f32_e32 v21, v20, v22
	v_add_f32_e32 v21, 1.0, v21
	v_sub_f32_e32 v20, v1, v20
	v_add_f32_e32 v23, v20, v21
	v_frexp_mant_f32_e32 v24, v22
	s_mov_b32 s0, 0x3f2aaaab
	v_cvt_f64_f32_e32 v[20:21], v22
	v_frexp_exp_i32_f64_e32 v20, v[20:21]
	v_cmp_gt_f32_e64 s[0:1], s0, v24
	s_nop 1
	v_subbrev_co_u32_e64 v44, s[0:1], 0, v20, s[0:1]
	v_sub_u32_e32 v20, 0, v44
	v_ldexp_f32 v21, v22, v20
	v_add_f32_e32 v22, -1.0, v21
	v_add_f32_e32 v24, 1.0, v21
	v_ldexp_f32 v20, v23, v20
	v_add_f32_e32 v23, 1.0, v22
	v_add_f32_e32 v25, -1.0, v24
	v_sub_f32_e32 v23, v21, v23
	v_sub_f32_e32 v21, v21, v25
	v_add_f32_e32 v23, v20, v23
	v_add_f32_e32 v20, v20, v21
	v_add_f32_e32 v45, v24, v20
	v_rcp_f32_e32 v47, v45
	v_sub_f32_e32 v21, v24, v45
	v_add_f32_e32 v46, v20, v21
	v_add_f32_e32 v21, v22, v23
	v_mul_f32_e32 v49, v21, v47
	v_sub_f32_e32 v20, v22, v21
	v_mul_f32_e32 v22, v45, v49
	v_fma_f32 v24, v49, v45, -v22
	v_fmac_f32_e32 v24, v49, v46
	v_add_f32_e32 v48, v23, v20
	v_add_f32_e32 v20, v22, v24
	v_sub_f32_e32 v23, v21, v20
	v_pk_add_f32 v[32:33], v[20:21], v[22:23] neg_lo:[0,1] neg_hi:[0,1]
	v_mov_b32_e32 v25, v20
	v_pk_add_f32 v[20:21], v[32:33], v[24:25] neg_lo:[0,1] neg_hi:[0,1]
	s_mov_b32 s0, 0x3f317218
	v_add_f32_e32 v21, v48, v21
	v_add_f32_e32 v20, v20, v21
	;; [unrolled: 1-line block ×3, first 2 shown]
	v_mul_f32_e32 v48, v47, v21
	v_mul_f32_e32 v22, v45, v48
	v_fma_f32 v24, v48, v45, -v22
	v_fmac_f32_e32 v24, v48, v46
	v_sub_f32_e32 v23, v23, v21
	v_add_f32_e32 v45, v20, v23
	v_add_f32_e32 v20, v22, v24
	v_sub_f32_e32 v23, v21, v20
	v_pk_add_f32 v[32:33], v[20:21], v[22:23] neg_lo:[0,1] neg_hi:[0,1]
	v_mov_b32_e32 v25, v20
	v_pk_add_f32 v[20:21], v[32:33], v[24:25] neg_lo:[0,1] neg_hi:[0,1]
	v_cvt_f32_i32_e32 v22, v44
	v_add_f32_e32 v21, v45, v21
	v_add_f32_e32 v20, v20, v21
	;; [unrolled: 1-line block ×4, first 2 shown]
	v_sub_f32_e32 v21, v23, v49
	v_mul_f32_e32 v20, v47, v20
	v_sub_f32_e32 v21, v48, v21
	v_add_f32_e32 v20, v21, v20
	v_add_f32_e32 v24, v23, v20
	v_mul_f32_e32 v32, v24, v24
	v_mov_b32_e32 v21, 0x3ecc95a3
	v_sub_f32_e32 v23, v24, v23
	v_fmac_f32_e32 v21, 0x3e9b6dac, v32
	v_sub_f32_e32 v20, v20, v23
	v_fmaak_f32 v21, v32, v21, 0x3f2aaada
	v_ldexp_f32 v33, v20, 1
	v_mul_f32_e32 v23, v24, v32
	v_mov_b32_e32 v20, 0x3f317218
	v_pk_mul_f32 v[20:21], v[22:23], v[20:21]
	v_ldexp_f32 v25, v24, 1
	v_fma_f32 v23, v22, s0, -v20
	v_fmamk_f32 v24, v22, 0xb102e308, v23
	v_pk_add_f32 v[22:23], v[20:21], v[24:25]
	v_mov_b32_e32 v32, v20
	v_sub_f32_e32 v25, v23, v25
	v_sub_f32_e32 v25, v21, v25
	v_add_f32_e32 v33, v33, v25
	v_pk_add_f32 v[20:21], v[22:23], v[20:21] neg_lo:[0,1] neg_hi:[0,1]
	v_pk_add_f32 v[44:45], v[22:23], v[32:33]
	v_mov_b32_e32 v25, v22
	v_mov_b32_e32 v21, v45
	v_pk_add_f32 v[46:47], v[24:25], v[20:21] neg_lo:[0,1] neg_hi:[0,1]
	v_pk_add_f32 v[20:21], v[24:25], v[20:21]
	v_mov_b32_e32 v32, v33
	v_pk_add_f32 v[24:25], v[20:21], v[22:23] op_sel:[1,0] op_sel_hi:[0,1] neg_lo:[0,1] neg_hi:[0,1]
	v_pk_add_f32 v[48:49], v[44:45], v[24:25] op_sel_hi:[1,0] neg_lo:[0,1] neg_hi:[0,1]
	v_mov_b32_e32 v44, v45
	v_mov_b32_e32 v45, v21
	v_pk_mov_b32 v[24:25], v[22:23], v[24:25] op_sel:[1,0]
	v_mov_b32_e32 v33, v22
	v_pk_add_f32 v[24:25], v[44:45], v[24:25] neg_lo:[0,1] neg_hi:[0,1]
	v_mov_b32_e32 v48, v46
	v_pk_add_f32 v[22:23], v[32:33], v[24:25] neg_lo:[0,1] neg_hi:[0,1]
	v_mov_b32_e32 v47, v21
	v_pk_add_f32 v[24:25], v[48:49], v[22:23]
	v_cmp_neq_f32_e64 s[0:1], s3, v1
	v_pk_add_f32 v[32:33], v[24:25], v[24:25] op_sel:[0,1] op_sel_hi:[1,0]
	s_nop 0
	v_pk_add_f32 v[20:21], v[20:21], v[32:33] op_sel:[1,0] op_sel_hi:[0,1]
	v_mov_b32_e32 v25, v20
	v_pk_add_f32 v[44:45], v[24:25], v[46:47] neg_lo:[0,1] neg_hi:[0,1]
	v_mov_b32_e32 v23, v32
	v_sub_f32_e32 v21, v24, v44
	v_pk_add_f32 v[22:23], v[22:23], v[44:45] neg_lo:[0,1] neg_hi:[0,1]
	v_sub_f32_e32 v21, v46, v21
	v_add_f32_e32 v21, v22, v21
	v_add_f32_e32 v21, v21, v23
	;; [unrolled: 1-line block ×3, first 2 shown]
	v_cndmask_b32_e64 v20, v60, v20, s[0:1]
	s_mov_b32 s0, 0x33800000
	v_cmp_gt_f32_e64 s[0:1], s0, v1
	s_nop 1
	v_cndmask_b32_e64 v64, v20, v1, s[0:1]
.LBB5_8:
	s_or_b64 exec, exec, s[12:13]
	s_ashr_i32 s22, s22, 2
	s_ashr_i32 s23, s22, 31
	v_lshl_add_u64 v[60:61], s[22:23], 2, v[18:19]
	global_load_dword v62, v[60:61], off
	v_mul_f32_e32 v32, v64, v14
	s_mov_b32 s17, 0x3fb8aa3b
	v_mul_f32_e32 v33, v64, v15
	v_mul_f32_e32 v79, 0x3fb8aa3b, v32
	;; [unrolled: 1-line block ×4, first 2 shown]
	v_fma_f32 v84, v32, s17, -v79
	v_rndne_f32_e32 v85, v79
	v_mul_f32_e32 v49, v64, v17
	v_mul_f32_e32 v81, 0x3fb8aa3b, v48
	v_fma_f32 v86, v33, s17, -v80
	v_rndne_f32_e32 v87, v80
	v_fmac_f32_e32 v84, 0x32a5705f, v32
	v_sub_f32_e32 v79, v79, v85
	v_mul_f32_e32 v82, 0x3fb8aa3b, v49
	v_fma_f32 v88, v48, s17, -v81
	v_rndne_f32_e32 v89, v81
	v_fmac_f32_e32 v86, 0x32a5705f, v33
	v_sub_f32_e32 v80, v80, v87
	v_add_f32_e32 v79, v79, v84
	v_fma_f32 v90, v49, s17, -v82
	v_rndne_f32_e32 v91, v82
	v_fmac_f32_e32 v88, 0x32a5705f, v48
	v_sub_f32_e32 v81, v81, v89
	v_cvt_i32_f32_e32 v85, v85
	v_add_f32_e32 v80, v80, v86
	v_exp_f32_e32 v79, v79
	v_fmac_f32_e32 v90, 0x32a5705f, v49
	v_sub_f32_e32 v82, v82, v91
	v_cvt_i32_f32_e32 v87, v87
	v_add_f32_e32 v81, v81, v88
	v_exp_f32_e32 v80, v80
	v_cvt_i32_f32_e32 v89, v89
	v_add_f32_e32 v82, v82, v90
	v_exp_f32_e32 v81, v81
	s_mov_b32 s3, 0xc2ce8ed0
	v_cvt_i32_f32_e32 v91, v91
	v_exp_f32_e32 v82, v82
	v_ldexp_f32 v79, v79, v85
	v_cmp_ngt_f32_e64 s[0:1], s3, v32
	v_ldexp_f32 v80, v80, v87
	v_mov_b32_e32 v65, 0
	v_cndmask_b32_e64 v79, 0, v79, s[0:1]
	v_cmp_ngt_f32_e64 s[0:1], s3, v33
	v_ldexp_f32 v81, v81, v89
	s_mov_b32 s16, 0x42b17218
	v_cndmask_b32_e64 v80, 0, v80, s[0:1]
	v_cmp_ngt_f32_e64 s[0:1], s3, v48
	ds_read_b128 v[44:47], v65
	ds_read_b128 v[66:69], v65 offset:16
	v_ldexp_f32 v82, v82, v91
	v_cndmask_b32_e64 v81, 0, v81, s[0:1]
	v_cmp_ngt_f32_e64 s[0:1], s3, v49
	v_mov_b32_e32 v1, 0x7f800000
	v_mul_f32_e32 v78, v64, v10
	v_cndmask_b32_e64 v82, 0, v82, s[0:1]
	v_cmp_nlt_f32_e64 s[0:1], s16, v32
	v_mul_f32_e32 v83, 0x3fb8aa3b, v78
	v_fma_f32 v92, v78, s17, -v83
	v_cndmask_b32_e64 v32, v1, v79, s[0:1]
	v_cmp_nlt_f32_e64 s[0:1], s16, v33
	v_rndne_f32_e32 v93, v83
	v_fmac_f32_e32 v92, 0x32a5705f, v78
	v_cndmask_b32_e64 v33, v1, v80, s[0:1]
	v_cmp_nlt_f32_e64 s[0:1], s16, v48
	v_sub_f32_e32 v83, v83, v93
	v_add_f32_e32 v83, v83, v92
	v_cndmask_b32_e64 v48, v1, v81, s[0:1]
	v_cmp_nlt_f32_e64 s[0:1], s16, v49
	v_exp_f32_e32 v83, v83
	ds_read_b128 v[22:25], v65 offset:32
	ds_read_b128 v[18:21], v65 offset:48
	;; [unrolled: 1-line block ×4, first 2 shown]
	v_cndmask_b32_e64 v49, v1, v82, s[0:1]
	v_cmp_ngt_f32_e64 s[0:1], s3, v78
	s_mov_b32 s12, 0
	s_mov_b32 s13, s10
	s_waitcnt vmcnt(0)
	v_mul_f32_e32 v62, v64, v62
	s_waitcnt lgkmcnt(5)
	v_pk_mul_f32 v[44:45], v[62:63], v[44:45] op_sel_hi:[0,1]
	v_pk_mul_f32 v[46:47], v[62:63], v[46:47] op_sel_hi:[0,1]
	v_pk_fma_f32 v[32:33], v[40:41], v[32:33], v[44:45]
	v_mul_f32_e32 v41, v64, v11
	v_pk_fma_f32 v[44:45], v[42:43], v[48:49], v[46:47]
	v_mul_f32_e32 v42, 0x3fb8aa3b, v41
	v_fma_f32 v43, v41, s17, -v42
	v_rndne_f32_e32 v46, v42
	v_cvt_i32_f32_e32 v40, v93
	v_fmac_f32_e32 v43, 0x32a5705f, v41
	v_sub_f32_e32 v42, v42, v46
	v_add_f32_e32 v42, v42, v43
	v_exp_f32_e32 v42, v42
	v_cvt_i32_f32_e32 v43, v46
	v_ldexp_f32 v40, v83, v40
	v_cndmask_b32_e64 v40, 0, v40, s[0:1]
	v_cmp_nlt_f32_e64 s[0:1], s16, v78
	v_ldexp_f32 v42, v42, v43
	s_waitcnt lgkmcnt(1)
	v_fma_f32 v48, v70, v32, 0
	v_cndmask_b32_e64 v40, v1, v40, s[0:1]
	v_cmp_ngt_f32_e64 s[0:1], s3, v41
	v_fmac_f32_e32 v48, v71, v33
	v_fmac_f32_e32 v48, v72, v44
	v_cndmask_b32_e64 v42, 0, v42, s[0:1]
	v_cmp_nlt_f32_e64 s[0:1], s16, v41
	v_fmac_f32_e32 v48, v73, v45
	v_pk_mul_f32 v[22:23], v[62:63], v[22:23] op_sel_hi:[0,1]
	v_cndmask_b32_e64 v41, v1, v42, s[0:1]
	v_pk_mul_f32 v[42:43], v[62:63], v[66:67] op_sel_hi:[0,1]
	v_pk_fma_f32 v[46:47], v[26:27], v[40:41], v[42:43]
	v_mul_f32_e32 v40, v64, v12
	v_mul_f32_e32 v26, 0x3fb8aa3b, v40
	v_fma_f32 v27, v40, s17, -v26
	v_rndne_f32_e32 v41, v26
	v_fmac_f32_e32 v27, 0x32a5705f, v40
	v_sub_f32_e32 v26, v26, v41
	v_add_f32_e32 v26, v26, v27
	v_exp_f32_e32 v42, v26
	v_cvt_i32_f32_e32 v41, v41
	s_waitcnt lgkmcnt(0)
	v_pk_mul_f32 v[26:27], v[74:75], v[46:47]
	v_cmp_ngt_f32_e64 s[0:1], s3, v40
	v_add_f32_e32 v26, v48, v26
	v_add_f32_e32 v43, v26, v27
	v_mul_f32_e32 v27, v64, v13
	v_ldexp_f32 v26, v42, v41
	v_mul_f32_e32 v41, 0x3fb8aa3b, v27
	v_fma_f32 v42, v27, s17, -v41
	v_rndne_f32_e32 v48, v41
	v_fmac_f32_e32 v42, 0x32a5705f, v27
	v_sub_f32_e32 v41, v41, v48
	v_add_f32_e32 v41, v41, v42
	v_exp_f32_e32 v41, v41
	v_cvt_i32_f32_e32 v42, v48
	v_cndmask_b32_e64 v26, 0, v26, s[0:1]
	v_cmp_nlt_f32_e64 s[0:1], s16, v40
	v_mul_f32_e32 v67, v64, v8
	v_ldexp_f32 v40, v41, v42
	v_cndmask_b32_e64 v26, v1, v26, s[0:1]
	v_cmp_ngt_f32_e64 s[0:1], s3, v27
	v_pk_mul_f32 v[24:25], v[62:63], v[24:25] op_sel_hi:[0,1]
	v_pk_mul_f32 v[18:19], v[62:63], v[18:19] op_sel_hi:[0,1]
	v_cndmask_b32_e64 v40, 0, v40, s[0:1]
	v_cmp_nlt_f32_e64 s[0:1], s16, v27
	v_pk_mul_f32 v[20:21], v[62:63], v[20:21] op_sel_hi:[0,1]
	s_nop 0
	v_cndmask_b32_e64 v27, v1, v40, s[0:1]
	v_pk_mul_f32 v[40:41], v[62:63], v[68:69] op_sel_hi:[0,1]
	v_pk_fma_f32 v[48:49], v[28:29], v[26:27], v[40:41]
	v_mul_f32_e32 v28, v64, v6
	v_mul_f32_e32 v26, 0x3fb8aa3b, v28
	v_fma_f32 v27, v28, s17, -v26
	v_rndne_f32_e32 v29, v26
	v_fmac_f32_e32 v27, 0x32a5705f, v28
	v_sub_f32_e32 v26, v26, v29
	v_add_f32_e32 v26, v26, v27
	v_exp_f32_e32 v40, v26
	v_cvt_i32_f32_e32 v29, v29
	v_pk_mul_f32 v[26:27], v[76:77], v[48:49]
	v_cmp_ngt_f32_e64 s[0:1], s3, v28
	v_add_f32_e32 v26, v43, v26
	v_add_f32_e32 v66, v26, v27
	v_mul_f32_e32 v27, v64, v7
	v_ldexp_f32 v26, v40, v29
	v_mul_f32_e32 v29, 0x3fb8aa3b, v27
	v_fma_f32 v40, v27, s17, -v29
	v_rndne_f32_e32 v41, v29
	v_fmac_f32_e32 v40, 0x32a5705f, v27
	v_sub_f32_e32 v29, v29, v41
	v_add_f32_e32 v29, v29, v40
	v_exp_f32_e32 v29, v29
	v_cvt_i32_f32_e32 v40, v41
	v_cndmask_b32_e64 v26, 0, v26, s[0:1]
	v_cmp_nlt_f32_e64 s[0:1], s16, v28
	v_ldexp_f32 v28, v29, v40
	s_nop 0
	v_cndmask_b32_e64 v26, v1, v26, s[0:1]
	v_cmp_ngt_f32_e64 s[0:1], s3, v27
	s_nop 1
	v_cndmask_b32_e64 v28, 0, v28, s[0:1]
	v_cmp_nlt_f32_e64 s[0:1], s16, v27
	s_nop 1
	v_cndmask_b32_e64 v27, v1, v28, s[0:1]
	v_pk_fma_f32 v[50:51], v[50:51], v[26:27], v[22:23]
	ds_read_b128 v[26:29], v65 offset:96
	v_mul_f32_e32 v22, 0x3fb8aa3b, v67
	v_fma_f32 v23, v67, s17, -v22
	v_rndne_f32_e32 v40, v22
	v_fmac_f32_e32 v23, 0x32a5705f, v67
	v_sub_f32_e32 v22, v22, v40
	v_add_f32_e32 v22, v22, v23
	v_exp_f32_e32 v68, v22
	v_cvt_i32_f32_e32 v69, v40
	ds_read_b128 v[40:43], v65 offset:112
	s_waitcnt lgkmcnt(1)
	v_pk_mul_f32 v[22:23], v[26:27], v[50:51]
	v_cmp_ngt_f32_e64 s[0:1], s3, v67
	v_add_f32_e32 v22, v66, v22
	v_add_f32_e32 v26, v22, v23
	v_mul_f32_e32 v23, v64, v9
	v_mul_f32_e32 v27, 0x3fb8aa3b, v23
	v_fma_f32 v65, v23, s17, -v27
	v_rndne_f32_e32 v66, v27
	v_fmac_f32_e32 v65, 0x32a5705f, v23
	v_sub_f32_e32 v27, v27, v66
	v_add_f32_e32 v27, v27, v65
	v_exp_f32_e32 v27, v27
	v_cvt_i32_f32_e32 v65, v66
	v_ldexp_f32 v22, v68, v69
	v_cndmask_b32_e64 v22, 0, v22, s[0:1]
	v_cmp_nlt_f32_e64 s[0:1], s16, v67
	v_ldexp_f32 v27, v27, v65
	s_nop 0
	v_cndmask_b32_e64 v22, v1, v22, s[0:1]
	v_cmp_ngt_f32_e64 s[0:1], s3, v23
	s_nop 1
	v_cndmask_b32_e64 v27, 0, v27, s[0:1]
	v_cmp_nlt_f32_e64 s[0:1], s16, v23
	s_nop 1
	v_cndmask_b32_e64 v23, v1, v27, s[0:1]
	v_pk_fma_f32 v[52:53], v[52:53], v[22:23], v[24:25]
	v_mul_f32_e32 v24, v64, v2
	v_mul_f32_e32 v22, 0x3fb8aa3b, v24
	v_fma_f32 v23, v24, s17, -v22
	v_rndne_f32_e32 v25, v22
	v_fmac_f32_e32 v23, 0x32a5705f, v24
	v_sub_f32_e32 v22, v22, v25
	v_add_f32_e32 v22, v22, v23
	v_exp_f32_e32 v27, v22
	v_cvt_i32_f32_e32 v25, v25
	v_pk_mul_f32 v[22:23], v[28:29], v[52:53]
	v_cmp_ngt_f32_e64 s[0:1], s3, v24
	v_add_f32_e32 v22, v26, v22
	v_add_f32_e32 v26, v22, v23
	v_mul_f32_e32 v23, v64, v3
	v_ldexp_f32 v22, v27, v25
	v_mul_f32_e32 v25, 0x3fb8aa3b, v23
	v_fma_f32 v27, v23, s17, -v25
	v_rndne_f32_e32 v28, v25
	v_fmac_f32_e32 v27, 0x32a5705f, v23
	v_sub_f32_e32 v25, v25, v28
	v_add_f32_e32 v25, v25, v27
	v_exp_f32_e32 v25, v25
	v_cvt_i32_f32_e32 v27, v28
	v_cndmask_b32_e64 v22, 0, v22, s[0:1]
	v_cmp_nlt_f32_e64 s[0:1], s16, v24
	v_ldexp_f32 v24, v25, v27
	s_nop 0
	v_cndmask_b32_e64 v22, v1, v22, s[0:1]
	v_cmp_ngt_f32_e64 s[0:1], s3, v23
	s_nop 1
	v_cndmask_b32_e64 v24, 0, v24, s[0:1]
	v_cmp_nlt_f32_e64 s[0:1], s16, v23
	s_nop 1
	v_cndmask_b32_e64 v23, v1, v24, s[0:1]
	v_pk_fma_f32 v[54:55], v[54:55], v[22:23], v[18:19]
	v_mul_f32_e32 v22, v64, v4
	v_mul_f32_e32 v18, 0x3fb8aa3b, v22
	v_fma_f32 v19, v22, s17, -v18
	v_rndne_f32_e32 v23, v18
	v_fmac_f32_e32 v19, 0x32a5705f, v22
	v_sub_f32_e32 v18, v18, v23
	v_add_f32_e32 v18, v18, v19
	v_exp_f32_e32 v24, v18
	v_cvt_i32_f32_e32 v23, v23
	s_waitcnt lgkmcnt(0)
	v_pk_mul_f32 v[18:19], v[40:41], v[54:55]
	v_cmp_ngt_f32_e64 s[0:1], s3, v22
	v_add_f32_e32 v18, v26, v18
	v_add_f32_e32 v25, v18, v19
	v_mul_f32_e32 v19, v64, v5
	v_ldexp_f32 v18, v24, v23
	v_mul_f32_e32 v23, 0x3fb8aa3b, v19
	v_fma_f32 v24, v19, s17, -v23
	v_rndne_f32_e32 v26, v23
	v_fmac_f32_e32 v24, 0x32a5705f, v19
	v_sub_f32_e32 v23, v23, v26
	v_add_f32_e32 v23, v23, v24
	v_exp_f32_e32 v23, v23
	v_cvt_i32_f32_e32 v24, v26
	v_cndmask_b32_e64 v18, 0, v18, s[0:1]
	v_cmp_nlt_f32_e64 s[0:1], s16, v22
	v_ldexp_f32 v22, v23, v24
	s_nop 0
	v_cndmask_b32_e64 v18, v1, v18, s[0:1]
	v_cmp_ngt_f32_e64 s[0:1], s3, v19
	s_nop 1
	v_cndmask_b32_e64 v22, 0, v22, s[0:1]
	v_cmp_nlt_f32_e64 s[0:1], s16, v19
	s_nop 1
	v_cndmask_b32_e64 v19, v1, v22, s[0:1]
	v_pk_fma_f32 v[56:57], v[56:57], v[18:19], v[20:21]
	s_ashr_i64 s[0:1], s[12:13], 30
	v_pk_mul_f32 v[18:19], v[42:43], v[56:57]
	s_nop 0
	v_add_f32_e32 v1, v25, v18
	v_add_f32_e32 v1, v1, v19
	v_lshl_add_u64 v[18:19], v[30:31], 0, s[0:1]
	global_store_dword v[18:19], v1, off
	s_barrier
	s_and_saveexec_b64 s[0:1], vcc
	s_cbranch_execz .LBB5_10
; %bb.9:
	v_lshl_add_u64 v[18:19], s[4:5], 3, v[38:39]
	global_load_dword v1, v[18:19], off
	v_lshl_add_u64 v[18:19], s[6:7], 3, v[36:37]
	global_load_dword v18, v[18:19], off
	s_waitcnt vmcnt(1)
	ds_write_b32 v0, v1
	s_waitcnt vmcnt(0)
	ds_write_b32 v63, v18
.LBB5_10:
	s_or_b64 exec, exec, s[0:1]
	s_lshl_b64 s[16:17], s[14:15], 2
	v_lshl_add_u64 v[58:59], v[58:59], 0, s[16:17]
	s_waitcnt lgkmcnt(0)
	s_barrier
	global_load_dword v1, v[58:59], off
	s_mov_b32 s0, 0x41a00000
	s_waitcnt vmcnt(0)
	v_cmp_ge_f32_e64 s[0:1], s0, v1
	s_and_saveexec_b64 s[14:15], s[0:1]
	s_cbranch_execz .LBB5_12
; %bb.11:
	v_mul_f32_e32 v18, 0x3fb8aa3b, v1
	s_mov_b32 s0, 0x3fb8aa3b
	v_rndne_f32_e32 v19, v18
	v_sub_f32_e32 v20, v18, v19
	v_fma_f32 v18, v1, s0, -v18
	v_fmamk_f32 v18, v1, 0x32a5705f, v18
	v_add_f32_e32 v18, v20, v18
	v_exp_f32_e32 v18, v18
	v_cvt_i32_f32_e32 v19, v19
	s_mov_b32 s0, 0xc2ce8ed0
	v_cmp_ngt_f32_e64 s[0:1], s0, v1
	v_mov_b32_e32 v42, 0x7f800000
	v_ldexp_f32 v18, v18, v19
	v_cndmask_b32_e64 v18, 0, v18, s[0:1]
	s_mov_b32 s0, 0x42b17218
	v_cmp_nlt_f32_e64 s[0:1], s0, v1
	s_mov_b32 s3, 0x7f800000
	s_nop 0
	v_cndmask_b32_e64 v1, v42, v18, s[0:1]
	v_add_f32_e32 v20, 1.0, v1
	v_add_f32_e32 v18, -1.0, v20
	v_sub_f32_e32 v19, v18, v20
	v_add_f32_e32 v19, 1.0, v19
	v_sub_f32_e32 v18, v1, v18
	v_add_f32_e32 v21, v18, v19
	v_frexp_mant_f32_e32 v22, v20
	s_mov_b32 s0, 0x3f2aaaab
	v_cvt_f64_f32_e32 v[18:19], v20
	v_frexp_exp_i32_f64_e32 v18, v[18:19]
	v_cmp_gt_f32_e64 s[0:1], s0, v22
	s_nop 1
	v_subbrev_co_u32_e64 v26, s[0:1], 0, v18, s[0:1]
	v_sub_u32_e32 v18, 0, v26
	v_ldexp_f32 v19, v20, v18
	v_add_f32_e32 v20, -1.0, v19
	v_add_f32_e32 v22, 1.0, v19
	v_ldexp_f32 v18, v21, v18
	v_add_f32_e32 v21, 1.0, v20
	v_add_f32_e32 v23, -1.0, v22
	v_sub_f32_e32 v21, v19, v21
	v_sub_f32_e32 v19, v19, v23
	v_add_f32_e32 v21, v18, v21
	v_add_f32_e32 v18, v18, v19
	;; [unrolled: 1-line block ×3, first 2 shown]
	v_rcp_f32_e32 v29, v27
	v_sub_f32_e32 v19, v22, v27
	v_add_f32_e32 v28, v18, v19
	v_add_f32_e32 v19, v20, v21
	v_mul_f32_e32 v41, v19, v29
	v_sub_f32_e32 v18, v20, v19
	v_mul_f32_e32 v20, v27, v41
	v_fma_f32 v22, v41, v27, -v20
	v_fmac_f32_e32 v22, v41, v28
	v_add_f32_e32 v40, v21, v18
	v_add_f32_e32 v18, v20, v22
	v_sub_f32_e32 v21, v19, v18
	v_pk_add_f32 v[24:25], v[18:19], v[20:21] neg_lo:[0,1] neg_hi:[0,1]
	v_mov_b32_e32 v23, v18
	v_pk_add_f32 v[18:19], v[24:25], v[22:23] neg_lo:[0,1] neg_hi:[0,1]
	s_mov_b32 s0, 0x3f317218
	v_add_f32_e32 v19, v40, v19
	v_add_f32_e32 v18, v18, v19
	;; [unrolled: 1-line block ×3, first 2 shown]
	v_mul_f32_e32 v40, v29, v19
	v_mul_f32_e32 v20, v27, v40
	v_fma_f32 v22, v40, v27, -v20
	v_fmac_f32_e32 v22, v40, v28
	v_sub_f32_e32 v21, v21, v19
	v_add_f32_e32 v27, v18, v21
	v_add_f32_e32 v18, v20, v22
	v_sub_f32_e32 v21, v19, v18
	v_pk_add_f32 v[24:25], v[18:19], v[20:21] neg_lo:[0,1] neg_hi:[0,1]
	v_mov_b32_e32 v23, v18
	v_pk_add_f32 v[18:19], v[24:25], v[22:23] neg_lo:[0,1] neg_hi:[0,1]
	v_cvt_f32_i32_e32 v20, v26
	v_add_f32_e32 v19, v27, v19
	v_add_f32_e32 v18, v18, v19
	;; [unrolled: 1-line block ×4, first 2 shown]
	v_sub_f32_e32 v19, v21, v41
	v_mul_f32_e32 v18, v29, v18
	v_sub_f32_e32 v19, v40, v19
	v_add_f32_e32 v18, v19, v18
	v_add_f32_e32 v22, v21, v18
	v_mul_f32_e32 v24, v22, v22
	v_mov_b32_e32 v19, 0x3ecc95a3
	v_sub_f32_e32 v21, v22, v21
	v_fmac_f32_e32 v19, 0x3e9b6dac, v24
	v_sub_f32_e32 v18, v18, v21
	v_fmaak_f32 v19, v24, v19, 0x3f2aaada
	v_ldexp_f32 v25, v18, 1
	v_mul_f32_e32 v21, v22, v24
	v_mov_b32_e32 v18, 0x3f317218
	v_pk_mul_f32 v[18:19], v[20:21], v[18:19]
	v_ldexp_f32 v23, v22, 1
	v_fma_f32 v21, v20, s0, -v18
	v_fmamk_f32 v22, v20, 0xb102e308, v21
	v_pk_add_f32 v[20:21], v[18:19], v[22:23]
	v_mov_b32_e32 v24, v18
	v_sub_f32_e32 v23, v21, v23
	v_sub_f32_e32 v23, v19, v23
	v_add_f32_e32 v25, v25, v23
	v_pk_add_f32 v[18:19], v[20:21], v[18:19] neg_lo:[0,1] neg_hi:[0,1]
	v_pk_add_f32 v[26:27], v[20:21], v[24:25]
	v_mov_b32_e32 v23, v20
	v_mov_b32_e32 v19, v27
	v_pk_add_f32 v[28:29], v[22:23], v[18:19] neg_lo:[0,1] neg_hi:[0,1]
	v_pk_add_f32 v[18:19], v[22:23], v[18:19]
	v_mov_b32_e32 v24, v25
	v_pk_add_f32 v[22:23], v[18:19], v[20:21] op_sel:[1,0] op_sel_hi:[0,1] neg_lo:[0,1] neg_hi:[0,1]
	v_pk_add_f32 v[40:41], v[26:27], v[22:23] op_sel_hi:[1,0] neg_lo:[0,1] neg_hi:[0,1]
	v_mov_b32_e32 v26, v27
	v_mov_b32_e32 v27, v19
	v_pk_mov_b32 v[22:23], v[20:21], v[22:23] op_sel:[1,0]
	v_mov_b32_e32 v25, v20
	v_pk_add_f32 v[22:23], v[26:27], v[22:23] neg_lo:[0,1] neg_hi:[0,1]
	v_mov_b32_e32 v40, v28
	v_pk_add_f32 v[20:21], v[24:25], v[22:23] neg_lo:[0,1] neg_hi:[0,1]
	v_mov_b32_e32 v29, v19
	v_pk_add_f32 v[22:23], v[40:41], v[20:21]
	v_cmp_neq_f32_e64 s[0:1], s3, v1
	v_pk_add_f32 v[24:25], v[22:23], v[22:23] op_sel:[0,1] op_sel_hi:[1,0]
	s_nop 0
	v_pk_add_f32 v[18:19], v[18:19], v[24:25] op_sel:[1,0] op_sel_hi:[0,1]
	v_mov_b32_e32 v23, v18
	v_pk_add_f32 v[26:27], v[22:23], v[28:29] neg_lo:[0,1] neg_hi:[0,1]
	v_mov_b32_e32 v21, v24
	v_sub_f32_e32 v19, v22, v26
	v_pk_add_f32 v[20:21], v[20:21], v[26:27] neg_lo:[0,1] neg_hi:[0,1]
	v_sub_f32_e32 v19, v28, v19
	v_add_f32_e32 v19, v20, v19
	v_add_f32_e32 v19, v19, v21
	;; [unrolled: 1-line block ×3, first 2 shown]
	v_cndmask_b32_e64 v18, v42, v18, s[0:1]
	s_mov_b32 s0, 0x33800000
	v_cmp_gt_f32_e64 s[0:1], s0, v1
	s_nop 1
	v_cndmask_b32_e64 v1, v18, v1, s[0:1]
.LBB5_12:
	s_or_b64 exec, exec, s[14:15]
	s_lshl_b64 s[14:15], s[22:23], 2
	v_lshl_add_u64 v[42:43], v[60:61], 0, s[14:15]
	global_load_dword v60, v[42:43], off
	v_mul_f32_e32 v40, v1, v14
	s_mov_b32 s7, 0x3fb8aa3b
	v_mul_f32_e32 v41, v1, v15
	v_mul_f32_e32 v79, 0x3fb8aa3b, v40
	;; [unrolled: 1-line block ×4, first 2 shown]
	v_fma_f32 v84, v40, s7, -v79
	v_rndne_f32_e32 v85, v79
	v_mul_f32_e32 v77, v1, v17
	v_mul_f32_e32 v81, 0x3fb8aa3b, v76
	v_fma_f32 v86, v41, s7, -v80
	v_rndne_f32_e32 v87, v80
	v_fmac_f32_e32 v84, 0x32a5705f, v40
	v_sub_f32_e32 v79, v79, v85
	v_mul_f32_e32 v82, 0x3fb8aa3b, v77
	v_fma_f32 v88, v76, s7, -v81
	v_rndne_f32_e32 v90, v81
	v_fmac_f32_e32 v86, 0x32a5705f, v41
	v_sub_f32_e32 v80, v80, v87
	v_add_f32_e32 v79, v79, v84
	v_fma_f32 v89, v77, s7, -v82
	v_rndne_f32_e32 v91, v82
	v_fmac_f32_e32 v88, 0x32a5705f, v76
	v_sub_f32_e32 v81, v81, v90
	v_cvt_i32_f32_e32 v85, v85
	v_add_f32_e32 v80, v80, v86
	v_exp_f32_e32 v79, v79
	v_fmac_f32_e32 v89, 0x32a5705f, v77
	v_cvt_i32_f32_e32 v87, v87
	v_sub_f32_e32 v82, v82, v91
	v_add_f32_e32 v81, v81, v88
	v_exp_f32_e32 v80, v80
	v_cvt_i32_f32_e32 v90, v90
	v_add_f32_e32 v82, v82, v89
	v_exp_f32_e32 v81, v81
	s_mov_b32 s3, 0xc2ce8ed0
	v_cvt_i32_f32_e32 v91, v91
	v_exp_f32_e32 v82, v82
	v_ldexp_f32 v79, v79, v85
	v_cmp_ngt_f32_e64 s[0:1], s3, v40
	v_ldexp_f32 v80, v80, v87
	v_ldexp_f32 v81, v81, v90
	v_cndmask_b32_e64 v79, 0, v79, s[0:1]
	v_cmp_ngt_f32_e64 s[0:1], s3, v41
	s_mov_b32 s5, 0x42b17218
	v_ldexp_f32 v82, v82, v91
	v_cndmask_b32_e64 v80, 0, v80, s[0:1]
	v_cmp_ngt_f32_e64 s[0:1], s3, v76
	v_mov_b32_e32 v61, 0x7f800000
	v_mov_b32_e32 v62, 0
	v_cndmask_b32_e64 v81, 0, v81, s[0:1]
	v_cmp_ngt_f32_e64 s[0:1], s3, v77
	ds_read_b128 v[64:67], v62
	ds_read_b128 v[26:29], v62 offset:16
	ds_read_b128 v[22:25], v62 offset:32
	;; [unrolled: 1-line block ×3, first 2 shown]
	v_cndmask_b32_e64 v82, 0, v82, s[0:1]
	v_cmp_nlt_f32_e64 s[0:1], s5, v40
	v_mul_f32_e32 v78, v1, v10
	v_mul_f32_e32 v83, 0x3fb8aa3b, v78
	v_cndmask_b32_e64 v40, v61, v79, s[0:1]
	v_cmp_nlt_f32_e64 s[0:1], s5, v41
	v_fma_f32 v92, v78, s7, -v83
	v_rndne_f32_e32 v93, v83
	v_cndmask_b32_e64 v41, v61, v80, s[0:1]
	v_cmp_nlt_f32_e64 s[0:1], s5, v76
	v_fmac_f32_e32 v92, 0x32a5705f, v78
	v_sub_f32_e32 v83, v83, v93
	v_cndmask_b32_e64 v76, v61, v81, s[0:1]
	v_cmp_nlt_f32_e64 s[0:1], s5, v77
	v_add_f32_e32 v83, v83, v92
	v_cvt_i32_f32_e32 v93, v93
	v_cndmask_b32_e64 v77, v61, v82, s[0:1]
	v_exp_f32_e32 v83, v83
	v_cmp_ngt_f32_e64 s[0:1], s3, v78
	ds_read_b128 v[68:71], v62 offset:64
	ds_read_b128 v[72:75], v62 offset:80
	v_ldexp_f32 v83, v83, v93
	s_waitcnt vmcnt(0)
	v_mul_f32_e32 v60, v1, v60
	s_waitcnt lgkmcnt(5)
	v_pk_mul_f32 v[64:65], v[60:61], v[64:65] op_sel_hi:[0,1]
	v_pk_mul_f32 v[66:67], v[60:61], v[66:67] op_sel_hi:[0,1]
	v_pk_fma_f32 v[40:41], v[32:33], v[40:41], v[64:65]
	v_pk_fma_f32 v[32:33], v[44:45], v[76:77], v[66:67]
	v_mul_f32_e32 v45, v1, v11
	v_mul_f32_e32 v44, 0x3fb8aa3b, v45
	v_fma_f32 v65, v45, s7, -v44
	v_rndne_f32_e32 v66, v44
	v_fmac_f32_e32 v65, 0x32a5705f, v45
	v_sub_f32_e32 v44, v44, v66
	v_add_f32_e32 v44, v44, v65
	v_exp_f32_e32 v65, v44
	v_cvt_i32_f32_e32 v66, v66
	v_cndmask_b32_e64 v44, 0, v83, s[0:1]
	v_cmp_nlt_f32_e64 s[0:1], s5, v78
	s_waitcnt lgkmcnt(4)
	v_pk_mul_f32 v[26:27], v[60:61], v[26:27] op_sel_hi:[0,1]
	v_ldexp_f32 v65, v65, v66
	v_cndmask_b32_e64 v44, v61, v44, s[0:1]
	v_cmp_ngt_f32_e64 s[0:1], s3, v45
	s_waitcnt lgkmcnt(1)
	v_fma_f32 v64, v68, v40, 0
	v_fmac_f32_e32 v64, v69, v41
	v_cndmask_b32_e64 v65, 0, v65, s[0:1]
	v_cmp_nlt_f32_e64 s[0:1], s5, v45
	v_fmac_f32_e32 v64, v70, v32
	v_fmac_f32_e32 v64, v71, v33
	v_cndmask_b32_e64 v45, v61, v65, s[0:1]
	v_pk_fma_f32 v[26:27], v[46:47], v[44:45], v[26:27]
	v_mul_f32_e32 v46, v1, v12
	v_mul_f32_e32 v44, 0x3fb8aa3b, v46
	v_fma_f32 v45, v46, s7, -v44
	v_rndne_f32_e32 v47, v44
	v_fmac_f32_e32 v45, 0x32a5705f, v46
	v_sub_f32_e32 v44, v44, v47
	v_add_f32_e32 v44, v44, v45
	v_exp_f32_e32 v65, v44
	v_cvt_i32_f32_e32 v47, v47
	s_waitcnt lgkmcnt(0)
	v_pk_mul_f32 v[44:45], v[72:73], v[26:27]
	v_cmp_ngt_f32_e64 s[0:1], s3, v46
	v_add_f32_e32 v44, v64, v44
	v_add_f32_e32 v64, v44, v45
	v_mul_f32_e32 v45, v1, v13
	v_ldexp_f32 v44, v65, v47
	v_mul_f32_e32 v47, 0x3fb8aa3b, v45
	v_fma_f32 v65, v45, s7, -v47
	v_rndne_f32_e32 v66, v47
	v_fmac_f32_e32 v65, 0x32a5705f, v45
	v_sub_f32_e32 v47, v47, v66
	v_add_f32_e32 v47, v47, v65
	v_exp_f32_e32 v47, v47
	v_cvt_i32_f32_e32 v65, v66
	v_cndmask_b32_e64 v44, 0, v44, s[0:1]
	v_cmp_nlt_f32_e64 s[0:1], s5, v46
	v_pk_mul_f32 v[28:29], v[60:61], v[28:29] op_sel_hi:[0,1]
	v_ldexp_f32 v46, v47, v65
	v_cndmask_b32_e64 v44, v61, v44, s[0:1]
	v_cmp_ngt_f32_e64 s[0:1], s3, v45
	v_pk_mul_f32 v[22:23], v[60:61], v[22:23] op_sel_hi:[0,1]
	v_mul_f32_e32 v65, v1, v8
	v_cndmask_b32_e64 v46, 0, v46, s[0:1]
	v_cmp_nlt_f32_e64 s[0:1], s5, v45
	v_pk_mul_f32 v[24:25], v[60:61], v[24:25] op_sel_hi:[0,1]
	v_pk_mul_f32 v[18:19], v[60:61], v[18:19] op_sel_hi:[0,1]
	v_cndmask_b32_e64 v45, v61, v46, s[0:1]
	v_mul_f32_e32 v46, v1, v6
	v_pk_fma_f32 v[28:29], v[48:49], v[44:45], v[28:29]
	v_mul_f32_e32 v44, 0x3fb8aa3b, v46
	v_fma_f32 v45, v46, s7, -v44
	v_rndne_f32_e32 v47, v44
	v_fmac_f32_e32 v45, 0x32a5705f, v46
	v_sub_f32_e32 v44, v44, v47
	v_add_f32_e32 v44, v44, v45
	v_exp_f32_e32 v48, v44
	v_cvt_i32_f32_e32 v47, v47
	v_pk_mul_f32 v[44:45], v[74:75], v[28:29]
	v_cmp_ngt_f32_e64 s[0:1], s3, v46
	v_add_f32_e32 v44, v64, v44
	v_add_f32_e32 v64, v44, v45
	v_mul_f32_e32 v45, v1, v7
	v_ldexp_f32 v44, v48, v47
	v_mul_f32_e32 v47, 0x3fb8aa3b, v45
	v_fma_f32 v48, v45, s7, -v47
	v_rndne_f32_e32 v49, v47
	v_fmac_f32_e32 v48, 0x32a5705f, v45
	v_sub_f32_e32 v47, v47, v49
	v_add_f32_e32 v47, v47, v48
	v_exp_f32_e32 v47, v47
	v_cvt_i32_f32_e32 v48, v49
	v_cndmask_b32_e64 v44, 0, v44, s[0:1]
	v_cmp_nlt_f32_e64 s[0:1], s5, v46
	v_pk_mul_f32 v[20:21], v[60:61], v[20:21] op_sel_hi:[0,1]
	v_ldexp_f32 v46, v47, v48
	v_cndmask_b32_e64 v44, v61, v44, s[0:1]
	v_cmp_ngt_f32_e64 s[0:1], s3, v45
	v_mul_f32_e32 v48, 0x3fb8aa3b, v65
	v_fma_f32 v49, v65, s7, -v48
	v_cndmask_b32_e64 v46, 0, v46, s[0:1]
	v_cmp_nlt_f32_e64 s[0:1], s5, v45
	v_fmac_f32_e32 v49, 0x32a5705f, v65
	s_nop 0
	v_cndmask_b32_e64 v45, v61, v46, s[0:1]
	v_pk_fma_f32 v[22:23], v[50:51], v[44:45], v[22:23]
	ds_read_b128 v[44:47], v62 offset:96
	v_rndne_f32_e32 v50, v48
	v_sub_f32_e32 v48, v48, v50
	v_add_f32_e32 v48, v48, v49
	v_exp_f32_e32 v66, v48
	v_cvt_i32_f32_e32 v67, v50
	ds_read_b128 v[48:51], v62 offset:112
	s_waitcnt lgkmcnt(1)
	v_pk_mul_f32 v[44:45], v[44:45], v[22:23]
	v_cmp_ngt_f32_e64 s[0:1], s3, v65
	v_add_f32_e32 v44, v64, v44
	v_add_f32_e32 v62, v44, v45
	v_mul_f32_e32 v45, v1, v9
	v_mul_f32_e32 v64, 0x3fb8aa3b, v45
	v_ldexp_f32 v44, v66, v67
	v_fma_f32 v66, v45, s7, -v64
	v_rndne_f32_e32 v67, v64
	v_fmac_f32_e32 v66, 0x32a5705f, v45
	v_sub_f32_e32 v64, v64, v67
	v_add_f32_e32 v64, v64, v66
	v_exp_f32_e32 v64, v64
	v_cvt_i32_f32_e32 v66, v67
	v_cndmask_b32_e64 v44, 0, v44, s[0:1]
	v_cmp_nlt_f32_e64 s[0:1], s5, v65
	v_ldexp_f32 v64, v64, v66
	s_nop 0
	v_cndmask_b32_e64 v44, v61, v44, s[0:1]
	v_cmp_ngt_f32_e64 s[0:1], s3, v45
	s_nop 1
	v_cndmask_b32_e64 v64, 0, v64, s[0:1]
	v_cmp_nlt_f32_e64 s[0:1], s5, v45
	s_nop 1
	v_cndmask_b32_e64 v45, v61, v64, s[0:1]
	v_pk_fma_f32 v[24:25], v[52:53], v[44:45], v[24:25]
	v_mul_f32_e32 v52, v1, v2
	v_mul_f32_e32 v44, 0x3fb8aa3b, v52
	v_fma_f32 v45, v52, s7, -v44
	v_rndne_f32_e32 v53, v44
	v_fmac_f32_e32 v45, 0x32a5705f, v52
	v_sub_f32_e32 v44, v44, v53
	v_add_f32_e32 v44, v44, v45
	v_exp_f32_e32 v64, v44
	v_cvt_i32_f32_e32 v53, v53
	v_pk_mul_f32 v[44:45], v[46:47], v[24:25]
	v_cmp_ngt_f32_e64 s[0:1], s3, v52
	v_add_f32_e32 v44, v62, v44
	v_add_f32_e32 v46, v44, v45
	v_mul_f32_e32 v45, v1, v3
	v_mul_f32_e32 v47, 0x3fb8aa3b, v45
	v_ldexp_f32 v44, v64, v53
	v_fma_f32 v53, v45, s7, -v47
	v_rndne_f32_e32 v62, v47
	v_fmac_f32_e32 v53, 0x32a5705f, v45
	v_sub_f32_e32 v47, v47, v62
	v_add_f32_e32 v47, v47, v53
	v_exp_f32_e32 v47, v47
	v_cvt_i32_f32_e32 v53, v62
	v_cndmask_b32_e64 v44, 0, v44, s[0:1]
	v_cmp_nlt_f32_e64 s[0:1], s5, v52
	v_ldexp_f32 v47, v47, v53
	s_nop 0
	v_cndmask_b32_e64 v44, v61, v44, s[0:1]
	v_cmp_ngt_f32_e64 s[0:1], s3, v45
	s_nop 1
	v_cndmask_b32_e64 v47, 0, v47, s[0:1]
	v_cmp_nlt_f32_e64 s[0:1], s5, v45
	s_nop 1
	v_cndmask_b32_e64 v45, v61, v47, s[0:1]
	v_mul_f32_e32 v47, v1, v4
	v_pk_fma_f32 v[18:19], v[54:55], v[44:45], v[18:19]
	v_mul_f32_e32 v44, 0x3fb8aa3b, v47
	v_fma_f32 v45, v47, s7, -v44
	v_rndne_f32_e32 v52, v44
	v_fmac_f32_e32 v45, 0x32a5705f, v47
	v_sub_f32_e32 v44, v44, v52
	v_add_f32_e32 v44, v44, v45
	v_exp_f32_e32 v53, v44
	s_waitcnt lgkmcnt(0)
	v_pk_mul_f32 v[44:45], v[48:49], v[18:19]
	v_mul_f32_e32 v1, v1, v5
	v_add_f32_e32 v44, v46, v44
	v_add_f32_e32 v46, v44, v45
	v_mul_f32_e32 v45, 0x3fb8aa3b, v1
	v_fma_f32 v48, v1, s7, -v45
	v_rndne_f32_e32 v49, v45
	v_cvt_i32_f32_e32 v52, v52
	v_fmac_f32_e32 v48, 0x32a5705f, v1
	v_sub_f32_e32 v45, v45, v49
	v_add_f32_e32 v45, v45, v48
	v_exp_f32_e32 v45, v45
	v_cvt_i32_f32_e32 v48, v49
	v_ldexp_f32 v44, v53, v52
	v_cmp_ngt_f32_e64 s[0:1], s3, v47
	v_ldexp_f32 v45, v45, v48
	s_nop 0
	v_cndmask_b32_e64 v44, 0, v44, s[0:1]
	v_cmp_nlt_f32_e64 s[0:1], s5, v47
	s_nop 1
	v_cndmask_b32_e64 v44, v61, v44, s[0:1]
	v_cmp_ngt_f32_e64 s[0:1], s3, v1
	s_nop 1
	v_cndmask_b32_e64 v45, 0, v45, s[0:1]
	v_cmp_nlt_f32_e64 s[0:1], s5, v1
	s_nop 1
	v_cndmask_b32_e64 v45, v61, v45, s[0:1]
	v_pk_fma_f32 v[20:21], v[56:57], v[44:45], v[20:21]
	s_ashr_i64 s[0:1], s[12:13], 29
	v_pk_mul_f32 v[44:45], v[50:51], v[20:21]
	s_nop 0
	v_add_f32_e32 v1, v46, v44
	v_add_f32_e32 v1, v1, v45
	v_lshl_add_u64 v[44:45], v[30:31], 0, s[0:1]
	global_store_dword v[44:45], v1, off
	s_barrier
	s_and_saveexec_b64 s[0:1], vcc
	s_cbranch_execz .LBB5_14
; %bb.13:
	v_mad_i64_i32 v[38:39], s[4:5], s4, 12, v[38:39]
	global_load_dword v1, v[38:39], off
	v_mad_i64_i32 v[36:37], s[4:5], s6, 12, v[36:37]
	global_load_dword v36, v[36:37], off
	s_waitcnt vmcnt(1)
	ds_write_b32 v0, v1
	s_waitcnt vmcnt(0)
	ds_write_b32 v63, v36
.LBB5_14:
	s_or_b64 exec, exec, s[0:1]
	v_lshl_add_u64 v[0:1], v[58:59], 0, s[16:17]
	s_waitcnt lgkmcnt(0)
	s_barrier
	global_load_dword v1, v[0:1], off
	s_bfe_i64 s[0:1], s[10:11], 0x200000
	s_mov_b32 s1, 0x41a00000
	s_waitcnt vmcnt(0)
	v_cmp_ge_f32_e32 vcc, s1, v1
	s_and_saveexec_b64 s[4:5], vcc
	s_cbranch_execz .LBB5_16
; %bb.15:
	v_mul_f32_e32 v0, 0x3fb8aa3b, v1
	s_mov_b32 s1, 0x3fb8aa3b
	v_rndne_f32_e32 v36, v0
	v_sub_f32_e32 v37, v0, v36
	v_fma_f32 v0, v1, s1, -v0
	v_fmamk_f32 v0, v1, 0x32a5705f, v0
	v_add_f32_e32 v0, v37, v0
	v_exp_f32_e32 v0, v0
	v_cvt_i32_f32_e32 v36, v36
	s_mov_b32 s1, 0xc2ce8ed0
	v_cmp_ngt_f32_e32 vcc, s1, v1
	s_mov_b32 s1, 0x42b17218
	v_ldexp_f32 v0, v0, v36
	v_cndmask_b32_e32 v0, 0, v0, vcc
	v_mov_b32_e32 v52, 0x7f800000
	v_cmp_nlt_f32_e32 vcc, s1, v1
	s_mov_b32 s1, 0x3f2aaaab
	s_mov_b32 s3, 0x7f800000
	v_cndmask_b32_e32 v53, v52, v0, vcc
	v_add_f32_e32 v36, 1.0, v53
	v_add_f32_e32 v0, -1.0, v36
	v_sub_f32_e32 v1, v0, v36
	v_add_f32_e32 v1, 1.0, v1
	v_sub_f32_e32 v0, v53, v0
	v_add_f32_e32 v37, v0, v1
	v_frexp_mant_f32_e32 v38, v36
	v_cvt_f64_f32_e32 v[0:1], v36
	v_frexp_exp_i32_f64_e32 v0, v[0:1]
	v_cmp_gt_f32_e32 vcc, s1, v38
	s_mov_b32 s1, 0x3f317218
	s_nop 0
	v_subbrev_co_u32_e32 v46, vcc, 0, v0, vcc
	v_sub_u32_e32 v0, 0, v46
	v_ldexp_f32 v1, v36, v0
	v_add_f32_e32 v36, -1.0, v1
	v_add_f32_e32 v38, 1.0, v1
	v_ldexp_f32 v0, v37, v0
	v_add_f32_e32 v37, 1.0, v36
	v_add_f32_e32 v39, -1.0, v38
	v_sub_f32_e32 v37, v1, v37
	v_sub_f32_e32 v1, v1, v39
	v_add_f32_e32 v37, v0, v37
	v_add_f32_e32 v0, v0, v1
	;; [unrolled: 1-line block ×3, first 2 shown]
	v_rcp_f32_e32 v49, v47
	v_sub_f32_e32 v1, v38, v47
	v_add_f32_e32 v48, v0, v1
	v_add_f32_e32 v1, v36, v37
	v_mul_f32_e32 v51, v1, v49
	v_sub_f32_e32 v0, v36, v1
	v_mul_f32_e32 v36, v47, v51
	v_fma_f32 v38, v51, v47, -v36
	v_fmac_f32_e32 v38, v51, v48
	v_add_f32_e32 v50, v37, v0
	v_add_f32_e32 v0, v36, v38
	v_sub_f32_e32 v37, v1, v0
	v_pk_add_f32 v[44:45], v[0:1], v[36:37] neg_lo:[0,1] neg_hi:[0,1]
	v_mov_b32_e32 v39, v0
	v_pk_add_f32 v[0:1], v[44:45], v[38:39] neg_lo:[0,1] neg_hi:[0,1]
	v_cmp_neq_f32_e32 vcc, s3, v53
	v_add_f32_e32 v1, v50, v1
	v_add_f32_e32 v0, v0, v1
	;; [unrolled: 1-line block ×3, first 2 shown]
	v_mul_f32_e32 v50, v49, v1
	v_mul_f32_e32 v36, v47, v50
	v_fma_f32 v38, v50, v47, -v36
	v_fmac_f32_e32 v38, v50, v48
	v_sub_f32_e32 v37, v37, v1
	v_add_f32_e32 v47, v0, v37
	v_add_f32_e32 v0, v36, v38
	v_sub_f32_e32 v37, v1, v0
	v_pk_add_f32 v[44:45], v[0:1], v[36:37] neg_lo:[0,1] neg_hi:[0,1]
	v_mov_b32_e32 v39, v0
	v_pk_add_f32 v[0:1], v[44:45], v[38:39] neg_lo:[0,1] neg_hi:[0,1]
	v_cvt_f32_i32_e32 v36, v46
	v_add_f32_e32 v1, v47, v1
	v_add_f32_e32 v0, v0, v1
	v_add_f32_e32 v0, v37, v0
	v_add_f32_e32 v37, v51, v50
	v_sub_f32_e32 v1, v37, v51
	v_mul_f32_e32 v0, v49, v0
	v_sub_f32_e32 v1, v50, v1
	v_add_f32_e32 v0, v1, v0
	v_add_f32_e32 v38, v37, v0
	v_mul_f32_e32 v44, v38, v38
	v_mov_b32_e32 v1, 0x3ecc95a3
	v_sub_f32_e32 v37, v38, v37
	v_fmac_f32_e32 v1, 0x3e9b6dac, v44
	v_sub_f32_e32 v0, v0, v37
	v_fmaak_f32 v1, v44, v1, 0x3f2aaada
	v_ldexp_f32 v45, v0, 1
	v_mul_f32_e32 v37, v38, v44
	v_mov_b32_e32 v0, 0x3f317218
	v_pk_mul_f32 v[0:1], v[36:37], v[0:1]
	v_ldexp_f32 v39, v38, 1
	v_fma_f32 v37, v36, s1, -v0
	v_fmamk_f32 v38, v36, 0xb102e308, v37
	v_pk_add_f32 v[36:37], v[0:1], v[38:39]
	v_mov_b32_e32 v44, v0
	v_sub_f32_e32 v39, v37, v39
	v_sub_f32_e32 v39, v1, v39
	v_add_f32_e32 v45, v45, v39
	v_pk_add_f32 v[0:1], v[36:37], v[0:1] neg_lo:[0,1] neg_hi:[0,1]
	v_pk_add_f32 v[46:47], v[36:37], v[44:45]
	v_mov_b32_e32 v39, v36
	v_mov_b32_e32 v1, v47
	v_pk_add_f32 v[48:49], v[38:39], v[0:1] neg_lo:[0,1] neg_hi:[0,1]
	v_pk_add_f32 v[0:1], v[38:39], v[0:1]
	v_mov_b32_e32 v44, v45
	v_pk_add_f32 v[38:39], v[0:1], v[36:37] op_sel:[1,0] op_sel_hi:[0,1] neg_lo:[0,1] neg_hi:[0,1]
	v_pk_add_f32 v[50:51], v[46:47], v[38:39] op_sel_hi:[1,0] neg_lo:[0,1] neg_hi:[0,1]
	v_mov_b32_e32 v46, v47
	v_mov_b32_e32 v47, v1
	v_pk_mov_b32 v[38:39], v[36:37], v[38:39] op_sel:[1,0]
	v_mov_b32_e32 v45, v36
	v_pk_add_f32 v[38:39], v[46:47], v[38:39] neg_lo:[0,1] neg_hi:[0,1]
	v_mov_b32_e32 v50, v48
	v_pk_add_f32 v[36:37], v[44:45], v[38:39] neg_lo:[0,1] neg_hi:[0,1]
	v_mov_b32_e32 v49, v1
	v_pk_add_f32 v[38:39], v[50:51], v[36:37]
	s_mov_b32 s1, 0x33800000
	v_pk_add_f32 v[44:45], v[38:39], v[38:39] op_sel:[0,1] op_sel_hi:[1,0]
	s_nop 0
	v_pk_add_f32 v[0:1], v[0:1], v[44:45] op_sel:[1,0] op_sel_hi:[0,1]
	v_mov_b32_e32 v39, v0
	v_pk_add_f32 v[46:47], v[38:39], v[48:49] neg_lo:[0,1] neg_hi:[0,1]
	v_mov_b32_e32 v37, v44
	v_sub_f32_e32 v1, v38, v46
	v_pk_add_f32 v[36:37], v[36:37], v[46:47] neg_lo:[0,1] neg_hi:[0,1]
	v_sub_f32_e32 v1, v48, v1
	v_add_f32_e32 v1, v36, v1
	v_add_f32_e32 v1, v1, v37
	;; [unrolled: 1-line block ×3, first 2 shown]
	v_cndmask_b32_e32 v0, v52, v0, vcc
	v_cmp_gt_f32_e32 vcc, s1, v53
	s_nop 1
	v_cndmask_b32_e32 v1, v0, v53, vcc
.LBB5_16:
	s_or_b64 exec, exec, s[4:5]
	v_lshl_add_u64 v[36:37], v[42:43], 0, s[14:15]
	v_mul_f32_e32 v14, v1, v14
	global_load_dword v0, v[36:37], off
	s_mov_b32 s3, 0x3fb8aa3b
	v_mul_f32_e32 v15, v1, v15
	v_mul_f32_e32 v36, 0x3fb8aa3b, v14
	;; [unrolled: 1-line block ×4, first 2 shown]
	v_fma_f32 v44, v14, s3, -v36
	v_rndne_f32_e32 v45, v36
	v_mul_f32_e32 v17, v1, v17
	v_mul_f32_e32 v38, 0x3fb8aa3b, v16
	v_fma_f32 v46, v15, s3, -v37
	v_rndne_f32_e32 v47, v37
	v_fmac_f32_e32 v44, 0x32a5705f, v14
	v_sub_f32_e32 v36, v36, v45
	v_mul_f32_e32 v10, v1, v10
	v_mul_f32_e32 v39, 0x3fb8aa3b, v17
	v_fma_f32 v48, v16, s3, -v38
	v_rndne_f32_e32 v49, v38
	v_fmac_f32_e32 v46, 0x32a5705f, v15
	v_sub_f32_e32 v37, v37, v47
	v_add_f32_e32 v36, v36, v44
	v_mul_f32_e32 v43, 0x3fb8aa3b, v10
	v_fma_f32 v51, v17, s3, -v39
	v_rndne_f32_e32 v52, v39
	v_cvt_i32_f32_e32 v45, v45
	v_fmac_f32_e32 v48, 0x32a5705f, v16
	v_sub_f32_e32 v38, v38, v49
	v_add_f32_e32 v37, v37, v46
	v_exp_f32_e32 v36, v36
	v_fma_f32 v53, v10, s3, -v43
	v_rndne_f32_e32 v54, v43
	v_cvt_i32_f32_e32 v47, v47
	v_fmac_f32_e32 v51, 0x32a5705f, v17
	v_sub_f32_e32 v39, v39, v52
	v_add_f32_e32 v38, v38, v48
	v_exp_f32_e32 v37, v37
	v_cvt_i32_f32_e32 v49, v49
	v_fmac_f32_e32 v53, 0x32a5705f, v10
	v_sub_f32_e32 v43, v43, v54
	v_add_f32_e32 v39, v39, v51
	v_exp_f32_e32 v38, v38
	s_mov_b32 s1, 0xc2ce8ed0
	v_cvt_i32_f32_e32 v52, v52
	v_add_f32_e32 v43, v43, v53
	v_exp_f32_e32 v39, v39
	v_cvt_i32_f32_e32 v54, v54
	v_exp_f32_e32 v43, v43
	v_ldexp_f32 v36, v36, v45
	v_cmp_ngt_f32_e32 vcc, s1, v14
	v_ldexp_f32 v37, v37, v47
	v_ldexp_f32 v38, v38, v49
	v_cndmask_b32_e32 v36, 0, v36, vcc
	v_cmp_ngt_f32_e32 vcc, s1, v15
	v_ldexp_f32 v39, v39, v52
	s_mul_i32 s5, s21, s2
	v_cndmask_b32_e32 v37, 0, v37, vcc
	v_cmp_ngt_f32_e32 vcc, s1, v16
	s_mov_b32 s2, 0x42b17218
	v_ldexp_f32 v43, v43, v54
	v_cndmask_b32_e32 v38, 0, v38, vcc
	v_cmp_ngt_f32_e32 vcc, s1, v17
	v_mov_b32_e32 v42, 0x7f800000
	v_mul_f32_e32 v11, v1, v11
	v_cndmask_b32_e32 v39, 0, v39, vcc
	v_cmp_ngt_f32_e32 vcc, s1, v10
	v_mul_f32_e32 v12, v1, v12
	v_mul_f32_e32 v6, v1, v6
	v_cndmask_b32_e32 v43, 0, v43, vcc
	v_cmp_nlt_f32_e32 vcc, s2, v14
	v_mul_f32_e32 v14, 0x3fb8aa3b, v11
	v_mul_f32_e32 v7, v1, v7
	v_cndmask_b32_e32 v54, v42, v36, vcc
	v_cmp_nlt_f32_e32 vcc, s2, v15
	v_fma_f32 v15, v11, s3, -v14
	v_fmac_f32_e32 v15, 0x32a5705f, v11
	v_cndmask_b32_e32 v55, v42, v37, vcc
	v_cmp_nlt_f32_e32 vcc, s2, v16
	v_rndne_f32_e32 v16, v14
	v_sub_f32_e32 v14, v14, v16
	v_add_f32_e32 v14, v14, v15
	v_exp_f32_e32 v44, v14
	v_cvt_i32_f32_e32 v45, v16
	v_cndmask_b32_e32 v56, v42, v38, vcc
	v_cmp_nlt_f32_e32 vcc, s2, v17
	v_mul_f32_e32 v8, v1, v8
	v_mul_f32_e32 v2, v1, v2
	v_cndmask_b32_e32 v57, v42, v39, vcc
	v_cmp_nlt_f32_e32 vcc, s2, v10
	v_ldexp_f32 v10, v44, v45
	v_mul_f32_e32 v3, v1, v3
	v_cndmask_b32_e32 v58, v42, v43, vcc
	v_mul_f32_e32 v43, 0x3fb8aa3b, v12
	v_fma_f32 v44, v12, s3, -v43
	v_rndne_f32_e32 v45, v43
	v_fmac_f32_e32 v44, 0x32a5705f, v12
	v_sub_f32_e32 v43, v43, v45
	v_add_f32_e32 v43, v43, v44
	v_exp_f32_e32 v43, v43
	v_cvt_i32_f32_e32 v44, v45
	v_cmp_ngt_f32_e32 vcc, s1, v11
	v_mul_f32_e32 v4, v1, v4
	s_waitcnt vmcnt(0)
	v_mul_f32_e32 v0, v1, v0
	v_cndmask_b32_e32 v10, 0, v10, vcc
	v_cmp_nlt_f32_e32 vcc, s2, v11
	v_mul_f32_e32 v11, v1, v13
	v_mul_f32_e32 v13, 0x3fb8aa3b, v11
	v_cndmask_b32_e32 v59, v42, v10, vcc
	v_ldexp_f32 v10, v43, v44
	v_fma_f32 v43, v11, s3, -v13
	v_rndne_f32_e32 v44, v13
	v_fmac_f32_e32 v43, 0x32a5705f, v11
	v_sub_f32_e32 v13, v13, v44
	v_add_f32_e32 v13, v13, v43
	v_exp_f32_e32 v13, v13
	v_cvt_i32_f32_e32 v43, v44
	v_cmp_ngt_f32_e32 vcc, s1, v12
	v_mov_b32_e32 v50, 0
	ds_read_b128 v[14:17], v50 offset:64
	ds_read_b128 v[36:39], v50 offset:80
	v_cndmask_b32_e32 v10, 0, v10, vcc
	v_cmp_nlt_f32_e32 vcc, s2, v12
	v_mul_f32_e32 v12, 0x3fb8aa3b, v6
	s_add_u32 s4, s18, s8
	v_cndmask_b32_e32 v60, v42, v10, vcc
	v_ldexp_f32 v10, v13, v43
	v_fma_f32 v13, v6, s3, -v12
	v_rndne_f32_e32 v43, v12
	v_fmac_f32_e32 v13, 0x32a5705f, v6
	v_sub_f32_e32 v12, v12, v43
	v_add_f32_e32 v12, v12, v13
	v_exp_f32_e32 v12, v12
	v_cvt_i32_f32_e32 v13, v43
	v_cmp_ngt_f32_e32 vcc, s1, v11
	s_addc_u32 s6, s19, s9
	s_add_u32 s4, s4, s5
	v_cndmask_b32_e32 v10, 0, v10, vcc
	v_cmp_nlt_f32_e32 vcc, s2, v11
	v_mul_f32_e32 v11, 0x3fb8aa3b, v7
	s_addc_u32 s5, s6, 0
	v_cndmask_b32_e32 v61, v42, v10, vcc
	v_ldexp_f32 v10, v12, v13
	v_fma_f32 v12, v7, s3, -v11
	v_rndne_f32_e32 v13, v11
	v_fmac_f32_e32 v12, 0x32a5705f, v7
	v_sub_f32_e32 v11, v11, v13
	v_add_f32_e32 v11, v11, v12
	v_exp_f32_e32 v11, v11
	v_cvt_i32_f32_e32 v12, v13
	v_cmp_ngt_f32_e32 vcc, s1, v6
	s_nop 1
	v_cndmask_b32_e32 v10, 0, v10, vcc
	v_cmp_nlt_f32_e32 vcc, s2, v6
	v_ldexp_f32 v6, v11, v12
	s_nop 0
	v_cndmask_b32_e32 v62, v42, v10, vcc
	v_mul_f32_e32 v10, 0x3fb8aa3b, v8
	v_fma_f32 v11, v8, s3, -v10
	v_rndne_f32_e32 v12, v10
	v_fmac_f32_e32 v11, 0x32a5705f, v8
	v_sub_f32_e32 v10, v10, v12
	v_add_f32_e32 v10, v10, v11
	v_exp_f32_e32 v10, v10
	v_cvt_i32_f32_e32 v11, v12
	v_cmp_ngt_f32_e32 vcc, s1, v7
	s_nop 1
	v_cndmask_b32_e32 v6, 0, v6, vcc
	v_cmp_nlt_f32_e32 vcc, s2, v7
	v_mul_f32_e32 v7, v1, v9
	v_mul_f32_e32 v9, 0x3fb8aa3b, v7
	v_cndmask_b32_e32 v63, v42, v6, vcc
	v_ldexp_f32 v6, v10, v11
	v_fma_f32 v10, v7, s3, -v9
	v_rndne_f32_e32 v11, v9
	v_fmac_f32_e32 v10, 0x32a5705f, v7
	v_sub_f32_e32 v9, v9, v11
	v_add_f32_e32 v9, v9, v10
	v_exp_f32_e32 v9, v9
	v_cvt_i32_f32_e32 v10, v11
	v_cmp_ngt_f32_e32 vcc, s1, v8
	v_mul_f32_e32 v1, v1, v5
	s_nop 0
	v_cndmask_b32_e32 v6, 0, v6, vcc
	v_cmp_nlt_f32_e32 vcc, s2, v8
	v_mul_f32_e32 v8, 0x3fb8aa3b, v2
	s_nop 0
	v_cndmask_b32_e32 v64, v42, v6, vcc
	v_ldexp_f32 v6, v9, v10
	v_fma_f32 v9, v2, s3, -v8
	v_rndne_f32_e32 v10, v8
	v_fmac_f32_e32 v9, 0x32a5705f, v2
	v_sub_f32_e32 v8, v8, v10
	v_add_f32_e32 v8, v8, v9
	v_exp_f32_e32 v8, v8
	v_cvt_i32_f32_e32 v9, v10
	v_cmp_ngt_f32_e32 vcc, s1, v7
	s_nop 1
	v_cndmask_b32_e32 v6, 0, v6, vcc
	v_cmp_nlt_f32_e32 vcc, s2, v7
	v_mul_f32_e32 v7, 0x3fb8aa3b, v3
	s_nop 0
	v_cndmask_b32_e32 v65, v42, v6, vcc
	v_ldexp_f32 v6, v8, v9
	v_fma_f32 v8, v3, s3, -v7
	v_rndne_f32_e32 v9, v7
	v_fmac_f32_e32 v8, 0x32a5705f, v3
	v_sub_f32_e32 v7, v7, v9
	v_add_f32_e32 v7, v7, v8
	v_exp_f32_e32 v43, v7
	v_cvt_i32_f32_e32 v44, v9
	v_cmp_ngt_f32_e32 vcc, s1, v2
	s_nop 1
	v_cndmask_b32_e32 v6, 0, v6, vcc
	v_cmp_nlt_f32_e32 vcc, s2, v2
	v_ldexp_f32 v2, v43, v44
	v_mul_f32_e32 v43, 0x3fb8aa3b, v4
	v_fma_f32 v44, v4, s3, -v43
	v_rndne_f32_e32 v45, v43
	v_fmac_f32_e32 v44, 0x32a5705f, v4
	v_sub_f32_e32 v43, v43, v45
	v_add_f32_e32 v43, v43, v44
	v_exp_f32_e32 v43, v43
	v_cvt_i32_f32_e32 v44, v45
	v_cndmask_b32_e32 v66, v42, v6, vcc
	v_cmp_ngt_f32_e32 vcc, s1, v3
	ds_read_b128 v[6:9], v50 offset:96
	ds_read_b128 v[10:13], v50 offset:112
	v_cndmask_b32_e32 v2, 0, v2, vcc
	v_cmp_nlt_f32_e32 vcc, s2, v3
	v_mul_f32_e32 v3, 0x3fb8aa3b, v1
	v_fma_f32 v5, v1, s3, -v3
	v_cndmask_b32_e32 v67, v42, v2, vcc
	v_ldexp_f32 v2, v43, v44
	v_rndne_f32_e32 v43, v3
	v_fmac_f32_e32 v5, 0x32a5705f, v1
	v_sub_f32_e32 v3, v3, v43
	v_add_f32_e32 v3, v3, v5
	v_exp_f32_e32 v3, v3
	v_cvt_i32_f32_e32 v5, v43
	v_cmp_ngt_f32_e32 vcc, s1, v4
	s_nop 1
	v_cndmask_b32_e32 v2, 0, v2, vcc
	v_cmp_nlt_f32_e32 vcc, s2, v4
	s_nop 1
	v_cndmask_b32_e32 v68, v42, v2, vcc
	v_ldexp_f32 v2, v3, v5
	v_cmp_ngt_f32_e32 vcc, s1, v1
	v_mad_i64_i32 v[30:31], s[0:1], s0, 12, v[30:31]
	s_nop 0
	v_cndmask_b32_e32 v2, 0, v2, vcc
	v_cmp_nlt_f32_e32 vcc, s2, v1
	s_add_u32 s0, s4, s36
	s_addc_u32 s1, s5, s33
	v_cndmask_b32_e32 v69, v42, v2, vcc
	ds_read_b128 v[2:5], v50
	ds_read_b128 v[42:45], v50 offset:16
	ds_read_b128 v[46:49], v50 offset:32
	;; [unrolled: 1-line block ×3, first 2 shown]
	v_lshl_add_u64 v[34:35], v[34:35], 2, s[0:1]
	s_waitcnt lgkmcnt(3)
	v_pk_mul_f32 v[2:3], v[0:1], v[2:3] op_sel_hi:[0,1]
	v_pk_fma_f32 v[2:3], v[40:41], v[54:55], v[2:3]
	v_pk_mul_f32 v[4:5], v[0:1], v[4:5] op_sel_hi:[0,1]
	v_fma_f32 v40, v14, v2, 0
	v_fmac_f32_e32 v40, v15, v3
	v_pk_fma_f32 v[4:5], v[32:33], v[56:57], v[4:5]
	s_waitcnt lgkmcnt(2)
	v_pk_mul_f32 v[14:15], v[0:1], v[42:43] op_sel_hi:[0,1]
	v_fmac_f32_e32 v40, v16, v4
	v_fmac_f32_e32 v40, v17, v5
	v_pk_fma_f32 v[14:15], v[26:27], v[58:59], v[14:15]
	v_pk_mul_f32 v[16:17], v[0:1], v[44:45] op_sel_hi:[0,1]
	v_fmac_f32_e32 v40, v36, v14
	v_fmac_f32_e32 v40, v37, v15
	v_pk_fma_f32 v[16:17], v[28:29], v[60:61], v[16:17]
	s_waitcnt lgkmcnt(1)
	v_pk_mul_f32 v[26:27], v[0:1], v[46:47] op_sel_hi:[0,1]
	v_fmac_f32_e32 v40, v38, v16
	v_fmac_f32_e32 v40, v39, v17
	v_pk_fma_f32 v[22:23], v[22:23], v[62:63], v[26:27]
	s_nop 0
	v_fmac_f32_e32 v40, v6, v22
	v_fmac_f32_e32 v40, v7, v23
	v_pk_mul_f32 v[6:7], v[0:1], v[48:49] op_sel_hi:[0,1]
	v_pk_fma_f32 v[24:25], v[24:25], v[64:65], v[6:7]
	s_waitcnt lgkmcnt(0)
	v_pk_mul_f32 v[6:7], v[0:1], v[50:51] op_sel_hi:[0,1]
	v_fmac_f32_e32 v40, v8, v24
	v_fmac_f32_e32 v40, v9, v25
	v_pk_fma_f32 v[6:7], v[18:19], v[66:67], v[6:7]
	v_pk_mul_f32 v[0:1], v[0:1], v[52:53] op_sel_hi:[0,1]
	v_fmac_f32_e32 v40, v10, v6
	v_fmac_f32_e32 v40, v11, v7
	v_pk_fma_f32 v[8:9], v[20:21], v[68:69], v[0:1]
	s_nop 0
	v_fmac_f32_e32 v40, v12, v8
	v_fmac_f32_e32 v40, v13, v9
	global_store_dword v[30:31], v40, off
	s_barrier
	global_store_dwordx4 v[34:35], v[2:5], off
	global_store_dwordx4 v[34:35], v[14:17], off offset:16
	global_store_dwordx4 v[34:35], v[22:25], off offset:32
	;; [unrolled: 1-line block ×3, first 2 shown]
	s_endpgm
	.section	.rodata,"a",@progbits
	.p2align	6, 0x0
	.amdhsa_kernel _Z12ssm_scan_f32ILm128ELm16ELm4EEvPKfS1_S1_S1_S1_S1_PKiPfiiiiiiiiiiilll
		.amdhsa_group_segment_fixed_size 128
		.amdhsa_private_segment_fixed_size 0
		.amdhsa_kernarg_size 136
		.amdhsa_user_sgpr_count 2
		.amdhsa_user_sgpr_dispatch_ptr 0
		.amdhsa_user_sgpr_queue_ptr 0
		.amdhsa_user_sgpr_kernarg_segment_ptr 1
		.amdhsa_user_sgpr_dispatch_id 0
		.amdhsa_user_sgpr_kernarg_preload_length 0
		.amdhsa_user_sgpr_kernarg_preload_offset 0
		.amdhsa_user_sgpr_private_segment_size 0
		.amdhsa_uses_dynamic_stack 0
		.amdhsa_enable_private_segment 0
		.amdhsa_system_sgpr_workgroup_id_x 1
		.amdhsa_system_sgpr_workgroup_id_y 1
		.amdhsa_system_sgpr_workgroup_id_z 0
		.amdhsa_system_sgpr_workgroup_info 0
		.amdhsa_system_vgpr_workitem_id 0
		.amdhsa_next_free_vgpr 94
		.amdhsa_next_free_sgpr 37
		.amdhsa_accum_offset 96
		.amdhsa_reserve_vcc 1
		.amdhsa_float_round_mode_32 0
		.amdhsa_float_round_mode_16_64 0
		.amdhsa_float_denorm_mode_32 3
		.amdhsa_float_denorm_mode_16_64 3
		.amdhsa_dx10_clamp 1
		.amdhsa_ieee_mode 1
		.amdhsa_fp16_overflow 0
		.amdhsa_tg_split 0
		.amdhsa_exception_fp_ieee_invalid_op 0
		.amdhsa_exception_fp_denorm_src 0
		.amdhsa_exception_fp_ieee_div_zero 0
		.amdhsa_exception_fp_ieee_overflow 0
		.amdhsa_exception_fp_ieee_underflow 0
		.amdhsa_exception_fp_ieee_inexact 0
		.amdhsa_exception_int_div_zero 0
	.end_amdhsa_kernel
	.section	.text._Z12ssm_scan_f32ILm128ELm16ELm4EEvPKfS1_S1_S1_S1_S1_PKiPfiiiiiiiiiiilll,"axG",@progbits,_Z12ssm_scan_f32ILm128ELm16ELm4EEvPKfS1_S1_S1_S1_S1_PKiPfiiiiiiiiiiilll,comdat
.Lfunc_end5:
	.size	_Z12ssm_scan_f32ILm128ELm16ELm4EEvPKfS1_S1_S1_S1_S1_PKiPfiiiiiiiiiiilll, .Lfunc_end5-_Z12ssm_scan_f32ILm128ELm16ELm4EEvPKfS1_S1_S1_S1_S1_PKiPfiiiiiiiiiiilll
                                        ; -- End function
	.set _Z12ssm_scan_f32ILm128ELm16ELm4EEvPKfS1_S1_S1_S1_S1_PKiPfiiiiiiiiiiilll.num_vgpr, 94
	.set _Z12ssm_scan_f32ILm128ELm16ELm4EEvPKfS1_S1_S1_S1_S1_PKiPfiiiiiiiiiiilll.num_agpr, 0
	.set _Z12ssm_scan_f32ILm128ELm16ELm4EEvPKfS1_S1_S1_S1_S1_PKiPfiiiiiiiiiiilll.numbered_sgpr, 37
	.set _Z12ssm_scan_f32ILm128ELm16ELm4EEvPKfS1_S1_S1_S1_S1_PKiPfiiiiiiiiiiilll.num_named_barrier, 0
	.set _Z12ssm_scan_f32ILm128ELm16ELm4EEvPKfS1_S1_S1_S1_S1_PKiPfiiiiiiiiiiilll.private_seg_size, 0
	.set _Z12ssm_scan_f32ILm128ELm16ELm4EEvPKfS1_S1_S1_S1_S1_PKiPfiiiiiiiiiiilll.uses_vcc, 1
	.set _Z12ssm_scan_f32ILm128ELm16ELm4EEvPKfS1_S1_S1_S1_S1_PKiPfiiiiiiiiiiilll.uses_flat_scratch, 0
	.set _Z12ssm_scan_f32ILm128ELm16ELm4EEvPKfS1_S1_S1_S1_S1_PKiPfiiiiiiiiiiilll.has_dyn_sized_stack, 0
	.set _Z12ssm_scan_f32ILm128ELm16ELm4EEvPKfS1_S1_S1_S1_S1_PKiPfiiiiiiiiiiilll.has_recursion, 0
	.set _Z12ssm_scan_f32ILm128ELm16ELm4EEvPKfS1_S1_S1_S1_S1_PKiPfiiiiiiiiiiilll.has_indirect_call, 0
	.section	.AMDGPU.csdata,"",@progbits
; Kernel info:
; codeLenInByte = 11248
; TotalNumSgprs: 43
; NumVgprs: 94
; NumAgprs: 0
; TotalNumVgprs: 94
; ScratchSize: 0
; MemoryBound: 0
; FloatMode: 240
; IeeeMode: 1
; LDSByteSize: 128 bytes/workgroup (compile time only)
; SGPRBlocks: 5
; VGPRBlocks: 11
; NumSGPRsForWavesPerEU: 43
; NumVGPRsForWavesPerEU: 94
; AccumOffset: 96
; Occupancy: 5
; WaveLimiterHint : 1
; COMPUTE_PGM_RSRC2:SCRATCH_EN: 0
; COMPUTE_PGM_RSRC2:USER_SGPR: 2
; COMPUTE_PGM_RSRC2:TRAP_HANDLER: 0
; COMPUTE_PGM_RSRC2:TGID_X_EN: 1
; COMPUTE_PGM_RSRC2:TGID_Y_EN: 1
; COMPUTE_PGM_RSRC2:TGID_Z_EN: 0
; COMPUTE_PGM_RSRC2:TIDIG_COMP_CNT: 0
; COMPUTE_PGM_RSRC3_GFX90A:ACCUM_OFFSET: 23
; COMPUTE_PGM_RSRC3_GFX90A:TG_SPLIT: 0
	.section	.text._Z12ssm_scan_f32ILm128ELm16ELm5EEvPKfS1_S1_S1_S1_S1_PKiPfiiiiiiiiiiilll,"axG",@progbits,_Z12ssm_scan_f32ILm128ELm16ELm5EEvPKfS1_S1_S1_S1_S1_PKiPfiiiiiiiiiiilll,comdat
	.protected	_Z12ssm_scan_f32ILm128ELm16ELm5EEvPKfS1_S1_S1_S1_S1_PKiPfiiiiiiiiiiilll ; -- Begin function _Z12ssm_scan_f32ILm128ELm16ELm5EEvPKfS1_S1_S1_S1_S1_PKiPfiiiiiiiiiiilll
	.globl	_Z12ssm_scan_f32ILm128ELm16ELm5EEvPKfS1_S1_S1_S1_S1_PKiPfiiiiiiiiiiilll
	.p2align	8
	.type	_Z12ssm_scan_f32ILm128ELm16ELm5EEvPKfS1_S1_S1_S1_S1_PKiPfiiiiiiiiiiilll,@function
_Z12ssm_scan_f32ILm128ELm16ELm5EEvPKfS1_S1_S1_S1_S1_PKiPfiiiiiiiiiiilll: ; @_Z12ssm_scan_f32ILm128ELm16ELm5EEvPKfS1_S1_S1_S1_S1_PKiPfiiiiiiiiiiilll
; %bb.0:
	s_load_dwordx16 s[4:19], s[0:1], 0x0
	s_load_dwordx8 s[20:27], s[0:1], 0x40
	s_mov_b32 s34, s3
	s_mov_b32 s3, 0
	s_lshl_b64 s[28:29], s[2:3], 2
	s_waitcnt lgkmcnt(0)
	s_add_u32 s16, s16, s28
	s_addc_u32 s17, s17, s29
	s_load_dword s16, s[16:17], 0x0
	v_mov_b32_e32 v35, 0
	s_mov_b32 s35, s3
	v_cmp_gt_u32_e32 vcc, 16, v0
	v_mov_b32_e32 v1, v35
	s_waitcnt lgkmcnt(0)
	s_mul_i32 s16, s16, s21
	s_ashr_i32 s17, s16, 31
	s_add_u32 s4, s4, s16
	s_addc_u32 s5, s5, s17
	s_lshl_b32 s16, s34, 7
	s_ashr_i32 s17, s20, 31
	s_mul_i32 s17, s16, s17
	s_mul_hi_u32 s28, s16, s20
	s_add_i32 s17, s28, s17
	s_lshr_b32 s28, s34, 25
	s_mul_i32 s29, s28, s20
	s_add_i32 s33, s17, s29
	s_mul_i32 s36, s16, s20
	s_add_u32 s4, s4, s36
	s_addc_u32 s5, s5, s33
	s_ashr_i32 s17, s26, 31
	s_mul_i32 s17, s16, s17
	s_mul_hi_u32 s29, s16, s26
	s_add_i32 s17, s29, s17
	s_mul_i32 s28, s28, s26
	s_add_i32 s17, s17, s28
	s_mul_i32 s16, s16, s26
	s_add_u32 s10, s10, s16
	s_addc_u32 s11, s11, s17
	s_ashr_i32 s17, s26, 2
	s_ashr_i32 s16, s20, 2
	v_mul_lo_u32 v34, s17, v0
	v_lshl_add_u64 v[36:37], v[34:35], 2, s[10:11]
	v_mul_lo_u32 v34, s16, v0
	v_lshl_add_u64 v[38:39], v[34:35], 2, s[4:5]
	global_load_dwordx4 v[2:5], v[36:37], off offset:48
	global_load_dwordx4 v[6:9], v[36:37], off offset:32
	;; [unrolled: 1-line block ×3, first 2 shown]
	global_load_dwordx4 v[14:17], v[36:37], off
	global_load_dwordx4 v[18:21], v[38:39], off offset:48
	global_load_dwordx4 v[22:25], v[38:39], off offset:32
	;; [unrolled: 1-line block ×3, first 2 shown]
	global_load_dwordx4 v[30:33], v[38:39], off
	s_load_dwordx4 s[28:31], s[0:1], 0x60
	v_lshlrev_b32_e32 v0, 2, v0
	v_add_u32_e32 v63, 64, v0
	s_waitcnt lgkmcnt(0)
	s_mul_i32 s3, s28, s2
	s_add_u32 s4, s12, s3
	s_mul_i32 s10, s30, s2
	s_addc_u32 s5, s13, 0
	s_add_u32 s10, s14, s10
	s_addc_u32 s11, s15, 0
	v_lshl_add_u64 v[38:39], s[4:5], 0, v[0:1]
	v_lshl_add_u64 v[36:37], s[10:11], 0, v[0:1]
	s_and_saveexec_b64 s[4:5], vcc
	s_cbranch_execz .LBB6_2
; %bb.1:
	global_load_dword v40, v[38:39], off
	global_load_dword v41, v[36:37], off
	s_waitcnt vmcnt(1)
	ds_write_b32 v0, v40
	s_waitcnt vmcnt(0)
	ds_write_b32 v63, v41
.LBB6_2:
	s_or_b64 exec, exec, s[4:5]
	s_lshl_b64 s[12:13], s[34:35], 9
	s_mul_i32 s3, s25, s2
	s_add_u32 s3, s8, s3
	s_addc_u32 s4, s9, 0
	s_add_u32 s14, s3, s12
	s_addc_u32 s15, s4, s13
	s_waitcnt lgkmcnt(0)
	s_barrier
	global_load_dword v51, v0, s[14:15]
	s_mov_b32 s3, 0x41a00000
	s_waitcnt vmcnt(0)
	v_cmp_ge_f32_e64 s[4:5], s3, v51
	s_and_saveexec_b64 s[8:9], s[4:5]
	s_cbranch_execz .LBB6_4
; %bb.3:
	v_mul_f32_e32 v40, 0x3fb8aa3b, v51
	s_mov_b32 s3, 0x3fb8aa3b
	v_rndne_f32_e32 v41, v40
	v_sub_f32_e32 v42, v40, v41
	v_fma_f32 v40, v51, s3, -v40
	v_fmamk_f32 v40, v51, 0x32a5705f, v40
	v_add_f32_e32 v40, v42, v40
	v_exp_f32_e32 v40, v40
	v_cvt_i32_f32_e32 v41, v41
	s_mov_b32 s3, 0xc2ce8ed0
	v_cmp_ngt_f32_e64 s[4:5], s3, v51
	s_mov_b32 s3, 0x42b17218
	v_ldexp_f32 v40, v40, v41
	v_cndmask_b32_e64 v40, 0, v40, s[4:5]
	v_mov_b32_e32 v54, 0x7f800000
	v_cmp_nlt_f32_e64 s[4:5], s3, v51
	s_mov_b32 s3, 0x3f2aaaab
	s_mov_b32 s10, 0x7f800000
	v_cndmask_b32_e64 v55, v54, v40, s[4:5]
	v_add_f32_e32 v42, 1.0, v55
	v_add_f32_e32 v40, -1.0, v42
	v_sub_f32_e32 v41, v40, v42
	v_add_f32_e32 v41, 1.0, v41
	v_sub_f32_e32 v40, v55, v40
	v_add_f32_e32 v43, v40, v41
	v_frexp_mant_f32_e32 v44, v42
	v_cvt_f64_f32_e32 v[40:41], v42
	v_frexp_exp_i32_f64_e32 v40, v[40:41]
	v_cmp_gt_f32_e64 s[4:5], s3, v44
	s_mov_b32 s3, 0x3f317218
	s_nop 0
	v_subbrev_co_u32_e64 v48, s[4:5], 0, v40, s[4:5]
	v_sub_u32_e32 v40, 0, v48
	v_ldexp_f32 v41, v42, v40
	v_add_f32_e32 v42, -1.0, v41
	v_add_f32_e32 v44, 1.0, v41
	v_ldexp_f32 v40, v43, v40
	v_add_f32_e32 v43, 1.0, v42
	v_add_f32_e32 v45, -1.0, v44
	v_sub_f32_e32 v43, v41, v43
	v_sub_f32_e32 v41, v41, v45
	v_add_f32_e32 v43, v40, v43
	v_add_f32_e32 v40, v40, v41
	;; [unrolled: 1-line block ×3, first 2 shown]
	v_rcp_f32_e32 v51, v49
	v_sub_f32_e32 v41, v44, v49
	v_add_f32_e32 v50, v40, v41
	v_add_f32_e32 v41, v42, v43
	v_mul_f32_e32 v53, v41, v51
	v_sub_f32_e32 v40, v42, v41
	v_mul_f32_e32 v42, v49, v53
	v_fma_f32 v44, v53, v49, -v42
	v_fmac_f32_e32 v44, v53, v50
	v_add_f32_e32 v52, v43, v40
	v_add_f32_e32 v40, v42, v44
	v_sub_f32_e32 v43, v41, v40
	v_pk_add_f32 v[46:47], v[40:41], v[42:43] neg_lo:[0,1] neg_hi:[0,1]
	v_mov_b32_e32 v45, v40
	v_pk_add_f32 v[40:41], v[46:47], v[44:45] neg_lo:[0,1] neg_hi:[0,1]
	v_cmp_neq_f32_e64 s[4:5], s10, v55
	v_add_f32_e32 v41, v52, v41
	v_add_f32_e32 v40, v40, v41
	;; [unrolled: 1-line block ×3, first 2 shown]
	v_mul_f32_e32 v52, v51, v41
	v_mul_f32_e32 v42, v49, v52
	v_fma_f32 v44, v52, v49, -v42
	v_fmac_f32_e32 v44, v52, v50
	v_sub_f32_e32 v43, v43, v41
	v_add_f32_e32 v49, v40, v43
	v_add_f32_e32 v40, v42, v44
	v_sub_f32_e32 v43, v41, v40
	v_pk_add_f32 v[46:47], v[40:41], v[42:43] neg_lo:[0,1] neg_hi:[0,1]
	v_mov_b32_e32 v45, v40
	v_pk_add_f32 v[40:41], v[46:47], v[44:45] neg_lo:[0,1] neg_hi:[0,1]
	v_cvt_f32_i32_e32 v42, v48
	v_add_f32_e32 v41, v49, v41
	v_add_f32_e32 v40, v40, v41
	v_add_f32_e32 v40, v43, v40
	v_add_f32_e32 v43, v53, v52
	v_sub_f32_e32 v41, v43, v53
	v_mul_f32_e32 v40, v51, v40
	v_sub_f32_e32 v41, v52, v41
	v_add_f32_e32 v40, v41, v40
	v_add_f32_e32 v44, v43, v40
	v_mul_f32_e32 v46, v44, v44
	v_mov_b32_e32 v41, 0x3ecc95a3
	v_sub_f32_e32 v43, v44, v43
	v_fmac_f32_e32 v41, 0x3e9b6dac, v46
	v_sub_f32_e32 v40, v40, v43
	v_fmaak_f32 v41, v46, v41, 0x3f2aaada
	v_ldexp_f32 v47, v40, 1
	v_mul_f32_e32 v43, v44, v46
	v_mov_b32_e32 v40, 0x3f317218
	v_pk_mul_f32 v[40:41], v[42:43], v[40:41]
	v_ldexp_f32 v45, v44, 1
	v_fma_f32 v43, v42, s3, -v40
	v_fmamk_f32 v44, v42, 0xb102e308, v43
	v_pk_add_f32 v[42:43], v[40:41], v[44:45]
	v_mov_b32_e32 v46, v40
	v_sub_f32_e32 v45, v43, v45
	v_sub_f32_e32 v45, v41, v45
	v_add_f32_e32 v47, v47, v45
	v_pk_add_f32 v[40:41], v[42:43], v[40:41] neg_lo:[0,1] neg_hi:[0,1]
	v_pk_add_f32 v[48:49], v[42:43], v[46:47]
	v_mov_b32_e32 v45, v42
	v_mov_b32_e32 v41, v49
	v_pk_add_f32 v[50:51], v[44:45], v[40:41] neg_lo:[0,1] neg_hi:[0,1]
	v_pk_add_f32 v[40:41], v[44:45], v[40:41]
	v_mov_b32_e32 v46, v47
	v_pk_add_f32 v[44:45], v[40:41], v[42:43] op_sel:[1,0] op_sel_hi:[0,1] neg_lo:[0,1] neg_hi:[0,1]
	v_pk_add_f32 v[52:53], v[48:49], v[44:45] op_sel_hi:[1,0] neg_lo:[0,1] neg_hi:[0,1]
	v_mov_b32_e32 v48, v49
	v_mov_b32_e32 v49, v41
	v_pk_mov_b32 v[44:45], v[42:43], v[44:45] op_sel:[1,0]
	v_mov_b32_e32 v47, v42
	v_pk_add_f32 v[44:45], v[48:49], v[44:45] neg_lo:[0,1] neg_hi:[0,1]
	v_mov_b32_e32 v52, v50
	v_pk_add_f32 v[42:43], v[46:47], v[44:45] neg_lo:[0,1] neg_hi:[0,1]
	v_mov_b32_e32 v51, v41
	v_pk_add_f32 v[44:45], v[52:53], v[42:43]
	s_mov_b32 s3, 0x33800000
	v_pk_add_f32 v[46:47], v[44:45], v[44:45] op_sel:[0,1] op_sel_hi:[1,0]
	s_nop 0
	v_pk_add_f32 v[40:41], v[40:41], v[46:47] op_sel:[1,0] op_sel_hi:[0,1]
	v_mov_b32_e32 v45, v40
	v_pk_add_f32 v[48:49], v[44:45], v[50:51] neg_lo:[0,1] neg_hi:[0,1]
	v_mov_b32_e32 v43, v46
	v_sub_f32_e32 v41, v44, v48
	v_pk_add_f32 v[42:43], v[42:43], v[48:49] neg_lo:[0,1] neg_hi:[0,1]
	v_sub_f32_e32 v41, v50, v41
	v_add_f32_e32 v41, v42, v41
	v_add_f32_e32 v41, v41, v43
	v_add_f32_e32 v40, v40, v41
	v_cndmask_b32_e64 v40, v54, v40, s[4:5]
	v_cmp_gt_f32_e64 s[4:5], s3, v55
	s_nop 1
	v_cndmask_b32_e64 v51, v40, v55, s[4:5]
.LBB6_4:
	s_or_b64 exec, exec, s[8:9]
	s_load_dwordx4 s[8:11], s[0:1], 0x70
	s_mul_i32 s0, s23, s2
	v_mul_f32_e32 v53, v51, v14
	v_lshl_add_u64 v[48:49], s[14:15], 0, v[0:1]
	s_mov_b32 s15, 0x3fb8aa3b
	s_waitcnt lgkmcnt(0)
	s_mul_i32 s1, s2, s11
	s_mul_hi_u32 s3, s2, s10
	s_mul_i32 s4, s2, s10
	s_add_i32 s1, s3, s1
	s_mul_hi_u32 s3, s4, 20
	s_mul_i32 s1, s1, 20
	s_add_i32 s3, s3, s1
	s_mul_i32 s4, s4, 20
	s_add_u32 s5, s18, s4
	s_addc_u32 s17, s19, s3
	s_ashr_i32 s4, s27, 2
	s_add_u32 s0, s6, s0
	s_addc_u32 s1, s7, 0
	s_add_u32 s6, s0, s12
	s_addc_u32 s7, s1, s13
	global_load_dword v50, v0, s[6:7]
	v_mul_f32_e32 v62, v51, v15
	v_mul_f32_e32 v64, 0x3fb8aa3b, v53
	;; [unrolled: 1-line block ×4, first 2 shown]
	v_fma_f32 v72, v53, s15, -v64
	v_rndne_f32_e32 v73, v64
	v_mul_f32_e32 v67, v51, v17
	v_mul_f32_e32 v69, 0x3fb8aa3b, v66
	v_fma_f32 v74, v62, s15, -v65
	v_rndne_f32_e32 v75, v65
	v_fmac_f32_e32 v72, 0x32a5705f, v53
	v_sub_f32_e32 v64, v64, v73
	v_mul_f32_e32 v70, 0x3fb8aa3b, v67
	v_fma_f32 v76, v66, s15, -v69
	v_rndne_f32_e32 v77, v69
	v_fmac_f32_e32 v74, 0x32a5705f, v62
	v_sub_f32_e32 v65, v65, v75
	v_add_f32_e32 v64, v64, v72
	v_fma_f32 v78, v67, s15, -v70
	v_rndne_f32_e32 v79, v70
	v_fmac_f32_e32 v76, 0x32a5705f, v66
	v_sub_f32_e32 v69, v69, v77
	v_cvt_i32_f32_e32 v73, v73
	v_add_f32_e32 v65, v65, v74
	v_exp_f32_e32 v64, v64
	v_fmac_f32_e32 v78, 0x32a5705f, v67
	v_sub_f32_e32 v70, v70, v79
	v_cvt_i32_f32_e32 v75, v75
	v_add_f32_e32 v69, v69, v76
	v_exp_f32_e32 v65, v65
	v_cvt_i32_f32_e32 v77, v77
	v_add_f32_e32 v70, v70, v78
	v_exp_f32_e32 v69, v69
	s_mov_b32 s3, 0xc2ce8ed0
	v_cvt_i32_f32_e32 v79, v79
	v_exp_f32_e32 v70, v70
	v_ldexp_f32 v64, v64, v73
	v_cmp_ngt_f32_e64 s[0:1], s3, v53
	v_ldexp_f32 v65, v65, v75
	v_mov_b32_e32 v1, 0
	v_cndmask_b32_e64 v64, 0, v64, s[0:1]
	v_cmp_ngt_f32_e64 s[0:1], s3, v62
	v_ldexp_f32 v69, v69, v77
	s_mov_b32 s14, 0x42b17218
	v_cndmask_b32_e64 v65, 0, v65, s[0:1]
	v_cmp_ngt_f32_e64 s[0:1], s3, v66
	ds_read_b128 v[40:43], v1
	ds_read_b128 v[44:47], v1 offset:16
	v_ldexp_f32 v70, v70, v79
	v_cndmask_b32_e64 v69, 0, v69, s[0:1]
	v_cmp_ngt_f32_e64 s[0:1], s3, v67
	v_mov_b32_e32 v52, 0x7f800000
	v_mul_f32_e32 v68, v51, v10
	v_cndmask_b32_e64 v70, 0, v70, s[0:1]
	v_cmp_nlt_f32_e64 s[0:1], s14, v53
	ds_read_b128 v[54:57], v1 offset:64
	ds_read_b128 v[58:61], v1 offset:80
	v_cndmask_b32_e64 v64, v52, v64, s[0:1]
	v_cmp_nlt_f32_e64 s[0:1], s14, v62
	v_mul_f32_e32 v71, 0x3fb8aa3b, v68
	v_fma_f32 v80, v68, s15, -v71
	v_cndmask_b32_e64 v65, v52, v65, s[0:1]
	v_cmp_nlt_f32_e64 s[0:1], s14, v66
	v_rndne_f32_e32 v81, v71
	v_fmac_f32_e32 v80, 0x32a5705f, v68
	v_cndmask_b32_e64 v66, v52, v69, s[0:1]
	v_cmp_nlt_f32_e64 s[0:1], s14, v67
	v_sub_f32_e32 v71, v71, v81
	v_add_f32_e32 v71, v71, v80
	v_cndmask_b32_e64 v67, v52, v70, s[0:1]
	v_cvt_i32_f32_e32 v81, v81
	v_exp_f32_e32 v71, v71
	v_cmp_ngt_f32_e64 s[0:1], s3, v68
	s_add_u32 s16, s5, s12
	s_addc_u32 s17, s17, s13
	s_ashr_i32 s12, s29, 2
	s_ashr_i32 s5, s4, 31
	;; [unrolled: 1-line block ×3, first 2 shown]
	s_waitcnt vmcnt(0)
	v_mul_f32_e32 v50, v51, v50
	s_waitcnt lgkmcnt(3)
	v_pk_mul_f32 v[40:41], v[50:51], v[40:41] op_sel_hi:[0,1]
	v_pk_mul_f32 v[42:43], v[50:51], v[42:43] op_sel_hi:[0,1]
	v_pk_fma_f32 v[40:41], v[30:31], v[64:65], v[40:41]
	v_mul_f32_e32 v31, v51, v11
	v_pk_fma_f32 v[42:43], v[32:33], v[66:67], v[42:43]
	v_mul_f32_e32 v32, 0x3fb8aa3b, v31
	s_waitcnt lgkmcnt(1)
	v_fma_f32 v53, v54, v40, 0
	v_fma_f32 v33, v31, s15, -v32
	v_rndne_f32_e32 v54, v32
	v_fmac_f32_e32 v33, 0x32a5705f, v31
	v_sub_f32_e32 v32, v32, v54
	v_add_f32_e32 v32, v32, v33
	v_exp_f32_e32 v32, v32
	v_cvt_i32_f32_e32 v33, v54
	v_ldexp_f32 v30, v71, v81
	v_cndmask_b32_e64 v30, 0, v30, s[0:1]
	v_cmp_nlt_f32_e64 s[0:1], s14, v68
	v_ldexp_f32 v32, v32, v33
	v_fmac_f32_e32 v53, v55, v41
	v_cndmask_b32_e64 v30, v52, v30, s[0:1]
	v_cmp_ngt_f32_e64 s[0:1], s3, v31
	v_fmac_f32_e32 v53, v56, v42
	v_mul_f32_e32 v56, v51, v12
	v_cndmask_b32_e64 v32, 0, v32, s[0:1]
	v_cmp_nlt_f32_e64 s[0:1], s14, v31
	v_fmac_f32_e32 v53, v57, v43
	v_mul_f32_e32 v57, v51, v13
	v_cndmask_b32_e64 v31, v52, v32, s[0:1]
	v_pk_mul_f32 v[32:33], v[50:51], v[44:45] op_sel_hi:[0,1]
	v_pk_fma_f32 v[26:27], v[26:27], v[30:31], v[32:33]
	v_mul_f32_e32 v32, 0x3fb8aa3b, v56
	v_fma_f32 v33, v56, s15, -v32
	v_rndne_f32_e32 v44, v32
	v_fmac_f32_e32 v33, 0x32a5705f, v56
	v_sub_f32_e32 v32, v32, v44
	v_add_f32_e32 v32, v32, v33
	v_cvt_i32_f32_e32 v33, v44
	v_mul_f32_e32 v44, 0x3fb8aa3b, v57
	v_fma_f32 v45, v57, s15, -v44
	v_rndne_f32_e32 v54, v44
	v_fmac_f32_e32 v45, 0x32a5705f, v57
	v_sub_f32_e32 v44, v44, v54
	v_add_f32_e32 v44, v44, v45
	v_exp_f32_e32 v44, v44
	v_cvt_i32_f32_e32 v45, v54
	v_exp_f32_e32 v32, v32
	s_waitcnt lgkmcnt(0)
	v_pk_mul_f32 v[30:31], v[58:59], v[26:27]
	v_cmp_ngt_f32_e64 s[0:1], s3, v57
	v_add_f32_e32 v30, v53, v30
	v_add_f32_e32 v53, v30, v31
	v_ldexp_f32 v30, v44, v45
	v_ldexp_f32 v58, v32, v33
	v_cndmask_b32_e64 v59, 0, v30, s[0:1]
	v_cmp_ngt_f32_e64 s[0:1], s3, v56
	v_pk_mul_f32 v[54:55], v[50:51], v[46:47] op_sel_hi:[0,1]
	ds_read_b128 v[44:47], v1 offset:32
	ds_read_b128 v[30:33], v1 offset:48
	v_cndmask_b32_e64 v58, 0, v58, s[0:1]
	v_cmp_nlt_f32_e64 s[0:1], s14, v56
	s_waitcnt lgkmcnt(1)
	v_pk_mul_f32 v[44:45], v[50:51], v[44:45] op_sel_hi:[0,1]
	v_cndmask_b32_e64 v56, v52, v58, s[0:1]
	v_cmp_nlt_f32_e64 s[0:1], s14, v57
	s_nop 1
	v_cndmask_b32_e64 v57, v52, v59, s[0:1]
	v_pk_fma_f32 v[28:29], v[28:29], v[56:57], v[54:55]
	v_mul_f32_e32 v56, v51, v6
	v_mul_f32_e32 v54, 0x3fb8aa3b, v56
	v_fma_f32 v55, v56, s15, -v54
	v_rndne_f32_e32 v57, v54
	v_fmac_f32_e32 v55, 0x32a5705f, v56
	v_sub_f32_e32 v54, v54, v57
	v_add_f32_e32 v54, v54, v55
	v_exp_f32_e32 v58, v54
	v_cvt_i32_f32_e32 v57, v57
	v_pk_mul_f32 v[54:55], v[60:61], v[28:29]
	v_mul_f32_e32 v59, v51, v7
	v_add_f32_e32 v53, v53, v54
	v_add_f32_e32 v53, v53, v55
	v_mul_f32_e32 v55, 0x3fb8aa3b, v59
	v_ldexp_f32 v54, v58, v57
	v_fma_f32 v57, v59, s15, -v55
	v_rndne_f32_e32 v58, v55
	v_fmac_f32_e32 v57, 0x32a5705f, v59
	v_sub_f32_e32 v55, v55, v58
	v_add_f32_e32 v55, v55, v57
	v_exp_f32_e32 v55, v55
	v_cvt_i32_f32_e32 v57, v58
	v_cmp_ngt_f32_e64 s[0:1], s3, v56
	s_nop 1
	v_cndmask_b32_e64 v54, 0, v54, s[0:1]
	v_cmp_nlt_f32_e64 s[0:1], s14, v56
	s_nop 1
	v_cndmask_b32_e64 v58, v52, v54, s[0:1]
	v_ldexp_f32 v54, v55, v57
	v_cmp_ngt_f32_e64 s[0:1], s3, v59
	s_nop 1
	v_cndmask_b32_e64 v60, 0, v54, s[0:1]
	ds_read_b128 v[54:57], v1 offset:96
	v_cmp_nlt_f32_e64 s[0:1], s14, v59
	s_nop 1
	v_cndmask_b32_e64 v59, v52, v60, s[0:1]
	v_pk_fma_f32 v[44:45], v[22:23], v[58:59], v[44:45]
	ds_read_b128 v[58:61], v1 offset:112
	s_waitcnt lgkmcnt(1)
	v_pk_mul_f32 v[22:23], v[54:55], v[44:45]
	s_nop 0
	v_add_f32_e32 v22, v53, v22
	v_mul_f32_e32 v53, v51, v8
	v_mul_f32_e32 v54, 0x3fb8aa3b, v53
	v_fma_f32 v55, v53, s15, -v54
	v_rndne_f32_e32 v62, v54
	v_fmac_f32_e32 v55, 0x32a5705f, v53
	v_sub_f32_e32 v54, v54, v62
	v_add_f32_e32 v54, v54, v55
	v_cvt_i32_f32_e32 v55, v62
	v_mul_f32_e32 v62, v51, v9
	v_mul_f32_e32 v64, 0x3fb8aa3b, v62
	v_fma_f32 v65, v62, s15, -v64
	v_rndne_f32_e32 v66, v64
	v_fmac_f32_e32 v65, 0x32a5705f, v62
	v_sub_f32_e32 v64, v64, v66
	v_add_f32_e32 v64, v64, v65
	v_exp_f32_e32 v64, v64
	v_cvt_i32_f32_e32 v65, v66
	v_exp_f32_e32 v54, v54
	v_add_f32_e32 v66, v22, v23
	v_pk_mul_f32 v[22:23], v[50:51], v[46:47] op_sel_hi:[0,1]
	v_ldexp_f32 v47, v64, v65
	v_cmp_ngt_f32_e64 s[0:1], s3, v62
	v_ldexp_f32 v46, v54, v55
	s_nop 0
	v_cndmask_b32_e64 v47, 0, v47, s[0:1]
	v_cmp_ngt_f32_e64 s[0:1], s3, v53
	s_nop 1
	v_cndmask_b32_e64 v46, 0, v46, s[0:1]
	v_cmp_nlt_f32_e64 s[0:1], s14, v53
	s_nop 1
	v_cndmask_b32_e64 v46, v52, v46, s[0:1]
	v_cmp_nlt_f32_e64 s[0:1], s14, v62
	s_nop 1
	v_cndmask_b32_e64 v47, v52, v47, s[0:1]
	v_pk_fma_f32 v[46:47], v[24:25], v[46:47], v[22:23]
	v_mul_f32_e32 v24, v51, v2
	v_mul_f32_e32 v22, 0x3fb8aa3b, v24
	v_fma_f32 v23, v24, s15, -v22
	v_rndne_f32_e32 v25, v22
	v_fmac_f32_e32 v23, 0x32a5705f, v24
	v_sub_f32_e32 v22, v22, v25
	v_add_f32_e32 v22, v22, v23
	v_exp_f32_e32 v53, v22
	v_cvt_i32_f32_e32 v25, v25
	v_pk_mul_f32 v[22:23], v[56:57], v[46:47]
	v_cmp_ngt_f32_e64 s[0:1], s3, v24
	v_add_f32_e32 v22, v66, v22
	v_add_f32_e32 v56, v22, v23
	v_mul_f32_e32 v23, v51, v3
	v_ldexp_f32 v22, v53, v25
	v_mul_f32_e32 v25, 0x3fb8aa3b, v23
	v_fma_f32 v53, v23, s15, -v25
	v_rndne_f32_e32 v54, v25
	v_fmac_f32_e32 v53, 0x32a5705f, v23
	v_sub_f32_e32 v25, v25, v54
	v_add_f32_e32 v25, v25, v53
	v_exp_f32_e32 v25, v25
	v_cvt_i32_f32_e32 v53, v54
	v_cndmask_b32_e64 v22, 0, v22, s[0:1]
	v_cmp_nlt_f32_e64 s[0:1], s14, v24
	v_ldexp_f32 v24, v25, v53
	s_nop 0
	v_cndmask_b32_e64 v22, v52, v22, s[0:1]
	v_cmp_ngt_f32_e64 s[0:1], s3, v23
	s_nop 1
	v_cndmask_b32_e64 v24, 0, v24, s[0:1]
	v_cmp_nlt_f32_e64 s[0:1], s14, v23
	s_nop 1
	v_cndmask_b32_e64 v23, v52, v24, s[0:1]
	v_pk_mul_f32 v[24:25], v[50:51], v[30:31] op_sel_hi:[0,1]
	v_pk_fma_f32 v[54:55], v[18:19], v[22:23], v[24:25]
	v_mul_f32_e32 v22, v51, v4
	v_mul_f32_e32 v18, 0x3fb8aa3b, v22
	v_fma_f32 v19, v22, s15, -v18
	v_rndne_f32_e32 v23, v18
	v_fmac_f32_e32 v19, 0x32a5705f, v22
	v_sub_f32_e32 v18, v18, v23
	v_add_f32_e32 v18, v18, v19
	v_exp_f32_e32 v24, v18
	v_cvt_i32_f32_e32 v23, v23
	s_waitcnt lgkmcnt(0)
	v_pk_mul_f32 v[18:19], v[58:59], v[54:55]
	v_cmp_ngt_f32_e64 s[0:1], s3, v22
	v_add_f32_e32 v18, v56, v18
	v_add_f32_e32 v25, v18, v19
	v_mul_f32_e32 v19, v51, v5
	v_ldexp_f32 v18, v24, v23
	v_mul_f32_e32 v23, 0x3fb8aa3b, v19
	v_fma_f32 v24, v19, s15, -v23
	v_rndne_f32_e32 v30, v23
	v_fmac_f32_e32 v24, 0x32a5705f, v19
	v_sub_f32_e32 v23, v23, v30
	v_add_f32_e32 v23, v23, v24
	v_exp_f32_e32 v23, v23
	v_cvt_i32_f32_e32 v24, v30
	v_cndmask_b32_e64 v18, 0, v18, s[0:1]
	v_cmp_nlt_f32_e64 s[0:1], s14, v22
	v_ldexp_f32 v22, v23, v24
	s_nop 0
	v_cndmask_b32_e64 v18, v52, v18, s[0:1]
	v_cmp_ngt_f32_e64 s[0:1], s3, v19
	s_nop 1
	v_cndmask_b32_e64 v22, 0, v22, s[0:1]
	v_cmp_nlt_f32_e64 s[0:1], s14, v19
	s_nop 1
	v_cndmask_b32_e64 v19, v52, v22, s[0:1]
	v_pk_mul_f32 v[22:23], v[50:51], v[32:33] op_sel_hi:[0,1]
	v_pk_fma_f32 v[56:57], v[20:21], v[18:19], v[22:23]
	s_nop 0
	v_pk_mul_f32 v[18:19], v[60:61], v[56:57]
	s_nop 0
	v_add_f32_e32 v18, v25, v18
	v_add_f32_e32 v18, v18, v19
	global_store_dword v0, v18, s[16:17]
	s_barrier
	s_and_saveexec_b64 s[0:1], vcc
	s_cbranch_execz .LBB6_6
; %bb.5:
	v_lshl_add_u64 v[18:19], s[4:5], 2, v[38:39]
	global_load_dword v20, v[18:19], off
	v_lshl_add_u64 v[18:19], s[12:13], 2, v[36:37]
	global_load_dword v18, v[18:19], off
	s_waitcnt vmcnt(1)
	ds_write_b32 v0, v20
	s_waitcnt vmcnt(0)
	ds_write_b32 v63, v18
.LBB6_6:
	s_or_b64 exec, exec, s[0:1]
	s_ashr_i32 s14, s24, 2
	s_ashr_i32 s15, s14, 31
	v_lshl_add_u64 v[58:59], s[14:15], 2, v[48:49]
	s_waitcnt lgkmcnt(0)
	s_barrier
	global_load_dword v64, v[58:59], off
	s_mov_b32 s0, 0x41a00000
	v_lshl_add_u64 v[18:19], s[6:7], 0, v[0:1]
	v_lshl_add_u64 v[30:31], s[16:17], 0, v[0:1]
	s_waitcnt vmcnt(0)
	v_cmp_ge_f32_e64 s[0:1], s0, v64
	s_and_saveexec_b64 s[6:7], s[0:1]
	s_cbranch_execz .LBB6_8
; %bb.7:
	v_mul_f32_e32 v1, 0x3fb8aa3b, v64
	s_mov_b32 s0, 0x3fb8aa3b
	v_rndne_f32_e32 v20, v1
	v_sub_f32_e32 v21, v1, v20
	v_fma_f32 v1, v64, s0, -v1
	v_fmamk_f32 v1, v64, 0x32a5705f, v1
	v_add_f32_e32 v1, v21, v1
	v_exp_f32_e32 v1, v1
	v_cvt_i32_f32_e32 v20, v20
	s_mov_b32 s0, 0xc2ce8ed0
	v_cmp_ngt_f32_e64 s[0:1], s0, v64
	v_mov_b32_e32 v60, 0x7f800000
	v_ldexp_f32 v1, v1, v20
	v_cndmask_b32_e64 v1, 0, v1, s[0:1]
	s_mov_b32 s0, 0x42b17218
	v_cmp_nlt_f32_e64 s[0:1], s0, v64
	s_mov_b32 s3, 0x7f800000
	s_nop 0
	v_cndmask_b32_e64 v1, v60, v1, s[0:1]
	v_add_f32_e32 v22, 1.0, v1
	v_add_f32_e32 v20, -1.0, v22
	v_sub_f32_e32 v21, v20, v22
	v_add_f32_e32 v21, 1.0, v21
	v_sub_f32_e32 v20, v1, v20
	v_add_f32_e32 v23, v20, v21
	v_frexp_mant_f32_e32 v24, v22
	s_mov_b32 s0, 0x3f2aaaab
	v_cvt_f64_f32_e32 v[20:21], v22
	v_frexp_exp_i32_f64_e32 v20, v[20:21]
	v_cmp_gt_f32_e64 s[0:1], s0, v24
	s_nop 1
	v_subbrev_co_u32_e64 v48, s[0:1], 0, v20, s[0:1]
	v_sub_u32_e32 v20, 0, v48
	v_ldexp_f32 v21, v22, v20
	v_add_f32_e32 v22, -1.0, v21
	v_add_f32_e32 v24, 1.0, v21
	v_ldexp_f32 v20, v23, v20
	v_add_f32_e32 v23, 1.0, v22
	v_add_f32_e32 v25, -1.0, v24
	v_sub_f32_e32 v23, v21, v23
	v_sub_f32_e32 v21, v21, v25
	v_add_f32_e32 v23, v20, v23
	v_add_f32_e32 v20, v20, v21
	;; [unrolled: 1-line block ×3, first 2 shown]
	v_rcp_f32_e32 v51, v49
	v_sub_f32_e32 v21, v24, v49
	v_add_f32_e32 v50, v20, v21
	v_add_f32_e32 v21, v22, v23
	v_mul_f32_e32 v53, v21, v51
	v_sub_f32_e32 v20, v22, v21
	v_mul_f32_e32 v22, v49, v53
	v_fma_f32 v24, v53, v49, -v22
	v_fmac_f32_e32 v24, v53, v50
	v_add_f32_e32 v52, v23, v20
	v_add_f32_e32 v20, v22, v24
	v_sub_f32_e32 v23, v21, v20
	v_pk_add_f32 v[32:33], v[20:21], v[22:23] neg_lo:[0,1] neg_hi:[0,1]
	v_mov_b32_e32 v25, v20
	v_pk_add_f32 v[20:21], v[32:33], v[24:25] neg_lo:[0,1] neg_hi:[0,1]
	s_mov_b32 s0, 0x3f317218
	v_add_f32_e32 v21, v52, v21
	v_add_f32_e32 v20, v20, v21
	v_add_f32_e32 v21, v23, v20
	v_mul_f32_e32 v52, v51, v21
	v_mul_f32_e32 v22, v49, v52
	v_fma_f32 v24, v52, v49, -v22
	v_fmac_f32_e32 v24, v52, v50
	v_sub_f32_e32 v23, v23, v21
	v_add_f32_e32 v49, v20, v23
	v_add_f32_e32 v20, v22, v24
	v_sub_f32_e32 v23, v21, v20
	v_pk_add_f32 v[32:33], v[20:21], v[22:23] neg_lo:[0,1] neg_hi:[0,1]
	v_mov_b32_e32 v25, v20
	v_pk_add_f32 v[20:21], v[32:33], v[24:25] neg_lo:[0,1] neg_hi:[0,1]
	v_cvt_f32_i32_e32 v22, v48
	v_add_f32_e32 v21, v49, v21
	v_add_f32_e32 v20, v20, v21
	;; [unrolled: 1-line block ×4, first 2 shown]
	v_sub_f32_e32 v21, v23, v53
	v_mul_f32_e32 v20, v51, v20
	v_sub_f32_e32 v21, v52, v21
	v_add_f32_e32 v20, v21, v20
	v_add_f32_e32 v24, v23, v20
	v_mul_f32_e32 v32, v24, v24
	v_mov_b32_e32 v21, 0x3ecc95a3
	v_sub_f32_e32 v23, v24, v23
	v_fmac_f32_e32 v21, 0x3e9b6dac, v32
	v_sub_f32_e32 v20, v20, v23
	v_fmaak_f32 v21, v32, v21, 0x3f2aaada
	v_ldexp_f32 v33, v20, 1
	v_mul_f32_e32 v23, v24, v32
	v_mov_b32_e32 v20, 0x3f317218
	v_pk_mul_f32 v[20:21], v[22:23], v[20:21]
	v_ldexp_f32 v25, v24, 1
	v_fma_f32 v23, v22, s0, -v20
	v_fmamk_f32 v24, v22, 0xb102e308, v23
	v_pk_add_f32 v[22:23], v[20:21], v[24:25]
	v_mov_b32_e32 v32, v20
	v_sub_f32_e32 v25, v23, v25
	v_sub_f32_e32 v25, v21, v25
	v_add_f32_e32 v33, v33, v25
	v_pk_add_f32 v[20:21], v[22:23], v[20:21] neg_lo:[0,1] neg_hi:[0,1]
	v_pk_add_f32 v[48:49], v[22:23], v[32:33]
	v_mov_b32_e32 v25, v22
	v_mov_b32_e32 v21, v49
	v_pk_add_f32 v[50:51], v[24:25], v[20:21] neg_lo:[0,1] neg_hi:[0,1]
	v_pk_add_f32 v[20:21], v[24:25], v[20:21]
	v_mov_b32_e32 v32, v33
	v_pk_add_f32 v[24:25], v[20:21], v[22:23] op_sel:[1,0] op_sel_hi:[0,1] neg_lo:[0,1] neg_hi:[0,1]
	v_pk_add_f32 v[52:53], v[48:49], v[24:25] op_sel_hi:[1,0] neg_lo:[0,1] neg_hi:[0,1]
	v_mov_b32_e32 v48, v49
	v_mov_b32_e32 v49, v21
	v_pk_mov_b32 v[24:25], v[22:23], v[24:25] op_sel:[1,0]
	v_mov_b32_e32 v33, v22
	v_pk_add_f32 v[24:25], v[48:49], v[24:25] neg_lo:[0,1] neg_hi:[0,1]
	v_mov_b32_e32 v52, v50
	v_pk_add_f32 v[22:23], v[32:33], v[24:25] neg_lo:[0,1] neg_hi:[0,1]
	v_mov_b32_e32 v51, v21
	v_pk_add_f32 v[24:25], v[52:53], v[22:23]
	v_cmp_neq_f32_e64 s[0:1], s3, v1
	v_pk_add_f32 v[32:33], v[24:25], v[24:25] op_sel:[0,1] op_sel_hi:[1,0]
	s_nop 0
	v_pk_add_f32 v[20:21], v[20:21], v[32:33] op_sel:[1,0] op_sel_hi:[0,1]
	v_mov_b32_e32 v25, v20
	v_pk_add_f32 v[48:49], v[24:25], v[50:51] neg_lo:[0,1] neg_hi:[0,1]
	v_mov_b32_e32 v23, v32
	v_sub_f32_e32 v21, v24, v48
	v_pk_add_f32 v[22:23], v[22:23], v[48:49] neg_lo:[0,1] neg_hi:[0,1]
	v_sub_f32_e32 v21, v50, v21
	v_add_f32_e32 v21, v22, v21
	v_add_f32_e32 v21, v21, v23
	;; [unrolled: 1-line block ×3, first 2 shown]
	v_cndmask_b32_e64 v20, v60, v20, s[0:1]
	s_mov_b32 s0, 0x33800000
	v_cmp_gt_f32_e64 s[0:1], s0, v1
	s_nop 1
	v_cndmask_b32_e64 v64, v20, v1, s[0:1]
.LBB6_8:
	s_or_b64 exec, exec, s[6:7]
	s_ashr_i32 s22, s22, 2
	s_ashr_i32 s23, s22, 31
	v_lshl_add_u64 v[60:61], s[22:23], 2, v[18:19]
	global_load_dword v62, v[60:61], off
	v_mul_f32_e32 v32, v64, v14
	s_mov_b32 s17, 0x3fb8aa3b
	v_mul_f32_e32 v33, v64, v15
	v_mul_f32_e32 v79, 0x3fb8aa3b, v32
	;; [unrolled: 1-line block ×4, first 2 shown]
	v_fma_f32 v84, v32, s17, -v79
	v_rndne_f32_e32 v85, v79
	v_mul_f32_e32 v53, v64, v17
	v_mul_f32_e32 v81, 0x3fb8aa3b, v52
	v_fma_f32 v86, v33, s17, -v80
	v_rndne_f32_e32 v87, v80
	v_fmac_f32_e32 v84, 0x32a5705f, v32
	v_sub_f32_e32 v79, v79, v85
	v_mul_f32_e32 v82, 0x3fb8aa3b, v53
	v_fma_f32 v88, v52, s17, -v81
	v_rndne_f32_e32 v89, v81
	v_fmac_f32_e32 v86, 0x32a5705f, v33
	v_sub_f32_e32 v80, v80, v87
	v_add_f32_e32 v79, v79, v84
	v_fma_f32 v90, v53, s17, -v82
	v_rndne_f32_e32 v91, v82
	v_fmac_f32_e32 v88, 0x32a5705f, v52
	v_sub_f32_e32 v81, v81, v89
	v_cvt_i32_f32_e32 v85, v85
	v_add_f32_e32 v80, v80, v86
	v_exp_f32_e32 v79, v79
	v_fmac_f32_e32 v90, 0x32a5705f, v53
	v_sub_f32_e32 v82, v82, v91
	v_cvt_i32_f32_e32 v87, v87
	v_add_f32_e32 v81, v81, v88
	v_exp_f32_e32 v80, v80
	v_cvt_i32_f32_e32 v89, v89
	v_add_f32_e32 v82, v82, v90
	v_exp_f32_e32 v81, v81
	s_mov_b32 s3, 0xc2ce8ed0
	v_cvt_i32_f32_e32 v91, v91
	v_exp_f32_e32 v82, v82
	v_ldexp_f32 v79, v79, v85
	v_cmp_ngt_f32_e64 s[0:1], s3, v32
	v_ldexp_f32 v80, v80, v87
	v_ldexp_f32 v81, v81, v89
	v_cndmask_b32_e64 v79, 0, v79, s[0:1]
	v_cmp_ngt_f32_e64 s[0:1], s3, v33
	s_mov_b32 s16, 0x42b17218
	v_mov_b32_e32 v65, 0
	v_cndmask_b32_e64 v80, 0, v80, s[0:1]
	v_cmp_ngt_f32_e64 s[0:1], s3, v52
	v_ldexp_f32 v82, v82, v91
	v_mov_b32_e32 v1, 0x7f800000
	v_cndmask_b32_e64 v81, 0, v81, s[0:1]
	v_cmp_ngt_f32_e64 s[0:1], s3, v53
	ds_read_b128 v[48:51], v65
	ds_read_b128 v[66:69], v65 offset:16
	v_cndmask_b32_e64 v82, 0, v82, s[0:1]
	v_cmp_nlt_f32_e64 s[0:1], s16, v32
	v_mul_f32_e32 v78, v64, v10
	v_mul_f32_e32 v83, 0x3fb8aa3b, v78
	v_cndmask_b32_e64 v32, v1, v79, s[0:1]
	v_cmp_nlt_f32_e64 s[0:1], s16, v33
	v_fma_f32 v92, v78, s17, -v83
	v_rndne_f32_e32 v93, v83
	v_cndmask_b32_e64 v33, v1, v80, s[0:1]
	v_cmp_nlt_f32_e64 s[0:1], s16, v52
	v_fmac_f32_e32 v92, 0x32a5705f, v78
	v_sub_f32_e32 v83, v83, v93
	v_cndmask_b32_e64 v52, v1, v81, s[0:1]
	v_cmp_nlt_f32_e64 s[0:1], s16, v53
	v_add_f32_e32 v83, v83, v92
	v_exp_f32_e32 v83, v83
	v_cndmask_b32_e64 v53, v1, v82, s[0:1]
	v_cmp_ngt_f32_e64 s[0:1], s3, v78
	ds_read_b128 v[22:25], v65 offset:32
	ds_read_b128 v[18:21], v65 offset:48
	;; [unrolled: 1-line block ×4, first 2 shown]
	s_mov_b32 s6, 0
	s_mov_b32 s7, s10
	s_waitcnt vmcnt(0)
	v_mul_f32_e32 v62, v64, v62
	s_waitcnt lgkmcnt(5)
	v_pk_mul_f32 v[48:49], v[62:63], v[48:49] op_sel_hi:[0,1]
	v_pk_mul_f32 v[50:51], v[62:63], v[50:51] op_sel_hi:[0,1]
	v_pk_fma_f32 v[32:33], v[40:41], v[32:33], v[48:49]
	v_pk_fma_f32 v[40:41], v[42:43], v[52:53], v[50:51]
	v_mul_f32_e32 v43, v64, v11
	v_mul_f32_e32 v48, 0x3fb8aa3b, v43
	v_fma_f32 v49, v43, s17, -v48
	v_rndne_f32_e32 v51, v48
	v_cvt_i32_f32_e32 v42, v93
	v_fmac_f32_e32 v49, 0x32a5705f, v43
	v_sub_f32_e32 v48, v48, v51
	v_add_f32_e32 v48, v48, v49
	v_exp_f32_e32 v48, v48
	v_cvt_i32_f32_e32 v49, v51
	v_ldexp_f32 v42, v83, v42
	v_cndmask_b32_e64 v42, 0, v42, s[0:1]
	v_cmp_nlt_f32_e64 s[0:1], s16, v78
	v_ldexp_f32 v48, v48, v49
	s_waitcnt lgkmcnt(1)
	v_fma_f32 v50, v70, v32, 0
	v_cndmask_b32_e64 v42, v1, v42, s[0:1]
	v_cmp_ngt_f32_e64 s[0:1], s3, v43
	v_fmac_f32_e32 v50, v71, v33
	v_fmac_f32_e32 v50, v72, v40
	v_cndmask_b32_e64 v48, 0, v48, s[0:1]
	v_cmp_nlt_f32_e64 s[0:1], s16, v43
	v_fmac_f32_e32 v50, v73, v41
	v_pk_mul_f32 v[22:23], v[62:63], v[22:23] op_sel_hi:[0,1]
	v_cndmask_b32_e64 v43, v1, v48, s[0:1]
	v_pk_mul_f32 v[48:49], v[62:63], v[66:67] op_sel_hi:[0,1]
	v_pk_fma_f32 v[42:43], v[26:27], v[42:43], v[48:49]
	v_mul_f32_e32 v48, v64, v12
	v_mul_f32_e32 v26, 0x3fb8aa3b, v48
	v_fma_f32 v27, v48, s17, -v26
	v_rndne_f32_e32 v49, v26
	v_fmac_f32_e32 v27, 0x32a5705f, v48
	v_sub_f32_e32 v26, v26, v49
	v_add_f32_e32 v26, v26, v27
	v_exp_f32_e32 v51, v26
	v_cvt_i32_f32_e32 v49, v49
	s_waitcnt lgkmcnt(0)
	v_pk_mul_f32 v[26:27], v[74:75], v[42:43]
	v_cmp_ngt_f32_e64 s[0:1], s3, v48
	v_add_f32_e32 v26, v50, v26
	v_add_f32_e32 v50, v26, v27
	v_mul_f32_e32 v27, v64, v13
	v_ldexp_f32 v26, v51, v49
	v_mul_f32_e32 v49, 0x3fb8aa3b, v27
	v_fma_f32 v51, v27, s17, -v49
	v_rndne_f32_e32 v52, v49
	v_fmac_f32_e32 v51, 0x32a5705f, v27
	v_sub_f32_e32 v49, v49, v52
	v_add_f32_e32 v49, v49, v51
	v_exp_f32_e32 v49, v49
	v_cvt_i32_f32_e32 v51, v52
	v_cndmask_b32_e64 v26, 0, v26, s[0:1]
	v_cmp_nlt_f32_e64 s[0:1], s16, v48
	v_pk_mul_f32 v[24:25], v[62:63], v[24:25] op_sel_hi:[0,1]
	v_ldexp_f32 v48, v49, v51
	v_cndmask_b32_e64 v26, v1, v26, s[0:1]
	v_cmp_ngt_f32_e64 s[0:1], s3, v27
	v_pk_mul_f32 v[18:19], v[62:63], v[18:19] op_sel_hi:[0,1]
	v_pk_mul_f32 v[20:21], v[62:63], v[20:21] op_sel_hi:[0,1]
	v_cndmask_b32_e64 v48, 0, v48, s[0:1]
	v_cmp_nlt_f32_e64 s[0:1], s16, v27
	s_nop 1
	v_cndmask_b32_e64 v27, v1, v48, s[0:1]
	v_pk_mul_f32 v[48:49], v[62:63], v[68:69] op_sel_hi:[0,1]
	v_pk_fma_f32 v[48:49], v[28:29], v[26:27], v[48:49]
	v_mul_f32_e32 v28, v64, v6
	v_mul_f32_e32 v26, 0x3fb8aa3b, v28
	v_fma_f32 v27, v28, s17, -v26
	v_rndne_f32_e32 v29, v26
	v_fmac_f32_e32 v27, 0x32a5705f, v28
	v_sub_f32_e32 v26, v26, v29
	v_add_f32_e32 v26, v26, v27
	v_exp_f32_e32 v51, v26
	v_cvt_i32_f32_e32 v29, v29
	v_pk_mul_f32 v[26:27], v[76:77], v[48:49]
	v_cmp_ngt_f32_e64 s[0:1], s3, v28
	v_add_f32_e32 v26, v50, v26
	v_add_f32_e32 v52, v26, v27
	v_mul_f32_e32 v27, v64, v7
	v_ldexp_f32 v26, v51, v29
	v_mul_f32_e32 v29, 0x3fb8aa3b, v27
	v_fma_f32 v50, v27, s17, -v29
	v_rndne_f32_e32 v51, v29
	v_fmac_f32_e32 v50, 0x32a5705f, v27
	v_sub_f32_e32 v29, v29, v51
	v_add_f32_e32 v29, v29, v50
	v_exp_f32_e32 v29, v29
	v_cvt_i32_f32_e32 v50, v51
	v_cndmask_b32_e64 v26, 0, v26, s[0:1]
	v_cmp_nlt_f32_e64 s[0:1], s16, v28
	ds_read_b128 v[66:69], v65 offset:112
	v_ldexp_f32 v28, v29, v50
	v_cndmask_b32_e64 v26, v1, v26, s[0:1]
	v_cmp_ngt_f32_e64 s[0:1], s3, v27
	s_nop 1
	v_cndmask_b32_e64 v28, 0, v28, s[0:1]
	v_cmp_nlt_f32_e64 s[0:1], s16, v27
	s_nop 1
	v_cndmask_b32_e64 v27, v1, v28, s[0:1]
	v_pk_fma_f32 v[50:51], v[44:45], v[26:27], v[22:23]
	ds_read_b128 v[26:29], v65 offset:96
	v_mul_f32_e32 v44, v64, v8
	v_mul_f32_e32 v22, 0x3fb8aa3b, v44
	v_fma_f32 v23, v44, s17, -v22
	v_rndne_f32_e32 v45, v22
	v_fmac_f32_e32 v23, 0x32a5705f, v44
	v_sub_f32_e32 v22, v22, v45
	v_add_f32_e32 v22, v22, v23
	v_exp_f32_e32 v53, v22
	v_cvt_i32_f32_e32 v45, v45
	s_waitcnt lgkmcnt(0)
	v_pk_mul_f32 v[22:23], v[26:27], v[50:51]
	v_cmp_ngt_f32_e64 s[0:1], s3, v44
	v_add_f32_e32 v22, v52, v22
	v_add_f32_e32 v26, v22, v23
	v_mul_f32_e32 v23, v64, v9
	v_mul_f32_e32 v27, 0x3fb8aa3b, v23
	v_ldexp_f32 v22, v53, v45
	v_fma_f32 v45, v23, s17, -v27
	v_rndne_f32_e32 v52, v27
	v_fmac_f32_e32 v45, 0x32a5705f, v23
	v_sub_f32_e32 v27, v27, v52
	v_add_f32_e32 v27, v27, v45
	v_exp_f32_e32 v27, v27
	v_cvt_i32_f32_e32 v45, v52
	v_cndmask_b32_e64 v22, 0, v22, s[0:1]
	v_cmp_nlt_f32_e64 s[0:1], s16, v44
	v_ldexp_f32 v27, v27, v45
	s_nop 0
	v_cndmask_b32_e64 v22, v1, v22, s[0:1]
	v_cmp_ngt_f32_e64 s[0:1], s3, v23
	s_nop 1
	v_cndmask_b32_e64 v27, 0, v27, s[0:1]
	v_cmp_nlt_f32_e64 s[0:1], s16, v23
	s_nop 1
	v_cndmask_b32_e64 v23, v1, v27, s[0:1]
	v_pk_fma_f32 v[52:53], v[46:47], v[22:23], v[24:25]
	v_mul_f32_e32 v24, v64, v2
	v_mul_f32_e32 v22, 0x3fb8aa3b, v24
	v_fma_f32 v23, v24, s17, -v22
	v_rndne_f32_e32 v25, v22
	v_fmac_f32_e32 v23, 0x32a5705f, v24
	v_sub_f32_e32 v22, v22, v25
	v_add_f32_e32 v22, v22, v23
	v_exp_f32_e32 v27, v22
	v_cvt_i32_f32_e32 v25, v25
	v_pk_mul_f32 v[22:23], v[28:29], v[52:53]
	v_cmp_ngt_f32_e64 s[0:1], s3, v24
	v_add_f32_e32 v22, v26, v22
	v_add_f32_e32 v26, v22, v23
	v_mul_f32_e32 v23, v64, v3
	v_ldexp_f32 v22, v27, v25
	v_mul_f32_e32 v25, 0x3fb8aa3b, v23
	v_fma_f32 v27, v23, s17, -v25
	v_rndne_f32_e32 v28, v25
	v_fmac_f32_e32 v27, 0x32a5705f, v23
	v_sub_f32_e32 v25, v25, v28
	v_add_f32_e32 v25, v25, v27
	v_exp_f32_e32 v25, v25
	v_cvt_i32_f32_e32 v27, v28
	v_cndmask_b32_e64 v22, 0, v22, s[0:1]
	v_cmp_nlt_f32_e64 s[0:1], s16, v24
	v_ldexp_f32 v24, v25, v27
	s_nop 0
	v_cndmask_b32_e64 v22, v1, v22, s[0:1]
	v_cmp_ngt_f32_e64 s[0:1], s3, v23
	s_nop 1
	v_cndmask_b32_e64 v24, 0, v24, s[0:1]
	v_cmp_nlt_f32_e64 s[0:1], s16, v23
	s_nop 1
	v_cndmask_b32_e64 v23, v1, v24, s[0:1]
	v_pk_fma_f32 v[54:55], v[54:55], v[22:23], v[18:19]
	v_mul_f32_e32 v22, v64, v4
	v_mul_f32_e32 v18, 0x3fb8aa3b, v22
	v_fma_f32 v19, v22, s17, -v18
	v_rndne_f32_e32 v23, v18
	v_fmac_f32_e32 v19, 0x32a5705f, v22
	v_sub_f32_e32 v18, v18, v23
	v_add_f32_e32 v18, v18, v19
	v_exp_f32_e32 v24, v18
	v_cvt_i32_f32_e32 v23, v23
	v_pk_mul_f32 v[18:19], v[66:67], v[54:55]
	v_cmp_ngt_f32_e64 s[0:1], s3, v22
	v_add_f32_e32 v18, v26, v18
	v_add_f32_e32 v25, v18, v19
	v_mul_f32_e32 v19, v64, v5
	v_ldexp_f32 v18, v24, v23
	v_mul_f32_e32 v23, 0x3fb8aa3b, v19
	v_fma_f32 v24, v19, s17, -v23
	v_rndne_f32_e32 v26, v23
	v_fmac_f32_e32 v24, 0x32a5705f, v19
	v_sub_f32_e32 v23, v23, v26
	v_add_f32_e32 v23, v23, v24
	v_exp_f32_e32 v23, v23
	v_cvt_i32_f32_e32 v24, v26
	v_cndmask_b32_e64 v18, 0, v18, s[0:1]
	v_cmp_nlt_f32_e64 s[0:1], s16, v22
	v_ldexp_f32 v22, v23, v24
	s_nop 0
	v_cndmask_b32_e64 v18, v1, v18, s[0:1]
	v_cmp_ngt_f32_e64 s[0:1], s3, v19
	s_nop 1
	v_cndmask_b32_e64 v22, 0, v22, s[0:1]
	v_cmp_nlt_f32_e64 s[0:1], s16, v19
	s_nop 1
	v_cndmask_b32_e64 v19, v1, v22, s[0:1]
	v_pk_fma_f32 v[56:57], v[56:57], v[18:19], v[20:21]
	s_ashr_i64 s[0:1], s[6:7], 30
	v_pk_mul_f32 v[18:19], v[68:69], v[56:57]
	s_nop 0
	v_add_f32_e32 v1, v25, v18
	v_add_f32_e32 v1, v1, v19
	v_lshl_add_u64 v[18:19], v[30:31], 0, s[0:1]
	global_store_dword v[18:19], v1, off
	s_barrier
	s_and_saveexec_b64 s[0:1], vcc
	s_cbranch_execz .LBB6_10
; %bb.9:
	v_lshl_add_u64 v[18:19], s[4:5], 3, v[38:39]
	global_load_dword v1, v[18:19], off
	v_lshl_add_u64 v[18:19], s[12:13], 3, v[36:37]
	global_load_dword v18, v[18:19], off
	s_waitcnt vmcnt(1)
	ds_write_b32 v0, v1
	s_waitcnt vmcnt(0)
	ds_write_b32 v63, v18
.LBB6_10:
	s_or_b64 exec, exec, s[0:1]
	s_lshl_b64 s[16:17], s[14:15], 2
	v_lshl_add_u64 v[58:59], v[58:59], 0, s[16:17]
	s_waitcnt lgkmcnt(0)
	s_barrier
	global_load_dword v1, v[58:59], off
	s_mov_b32 s0, 0x41a00000
	s_waitcnt vmcnt(0)
	v_cmp_ge_f32_e64 s[0:1], s0, v1
	s_and_saveexec_b64 s[14:15], s[0:1]
	s_cbranch_execz .LBB6_12
; %bb.11:
	v_mul_f32_e32 v18, 0x3fb8aa3b, v1
	s_mov_b32 s0, 0x3fb8aa3b
	v_rndne_f32_e32 v19, v18
	v_sub_f32_e32 v20, v18, v19
	v_fma_f32 v18, v1, s0, -v18
	v_fmamk_f32 v18, v1, 0x32a5705f, v18
	v_add_f32_e32 v18, v20, v18
	v_exp_f32_e32 v18, v18
	v_cvt_i32_f32_e32 v19, v19
	s_mov_b32 s0, 0xc2ce8ed0
	v_cmp_ngt_f32_e64 s[0:1], s0, v1
	v_mov_b32_e32 v46, 0x7f800000
	v_ldexp_f32 v18, v18, v19
	v_cndmask_b32_e64 v18, 0, v18, s[0:1]
	s_mov_b32 s0, 0x42b17218
	v_cmp_nlt_f32_e64 s[0:1], s0, v1
	s_mov_b32 s3, 0x7f800000
	s_nop 0
	v_cndmask_b32_e64 v1, v46, v18, s[0:1]
	v_add_f32_e32 v20, 1.0, v1
	v_add_f32_e32 v18, -1.0, v20
	v_sub_f32_e32 v19, v18, v20
	v_add_f32_e32 v19, 1.0, v19
	v_sub_f32_e32 v18, v1, v18
	v_add_f32_e32 v21, v18, v19
	v_frexp_mant_f32_e32 v22, v20
	s_mov_b32 s0, 0x3f2aaaab
	v_cvt_f64_f32_e32 v[18:19], v20
	v_frexp_exp_i32_f64_e32 v18, v[18:19]
	v_cmp_gt_f32_e64 s[0:1], s0, v22
	s_nop 1
	v_subbrev_co_u32_e64 v26, s[0:1], 0, v18, s[0:1]
	v_sub_u32_e32 v18, 0, v26
	v_ldexp_f32 v19, v20, v18
	v_add_f32_e32 v20, -1.0, v19
	v_add_f32_e32 v22, 1.0, v19
	v_ldexp_f32 v18, v21, v18
	v_add_f32_e32 v21, 1.0, v20
	v_add_f32_e32 v23, -1.0, v22
	v_sub_f32_e32 v21, v19, v21
	v_sub_f32_e32 v19, v19, v23
	v_add_f32_e32 v21, v18, v21
	v_add_f32_e32 v18, v18, v19
	;; [unrolled: 1-line block ×3, first 2 shown]
	v_rcp_f32_e32 v29, v27
	v_sub_f32_e32 v19, v22, v27
	v_add_f32_e32 v28, v18, v19
	v_add_f32_e32 v19, v20, v21
	v_mul_f32_e32 v45, v19, v29
	v_sub_f32_e32 v18, v20, v19
	v_mul_f32_e32 v20, v27, v45
	v_fma_f32 v22, v45, v27, -v20
	v_fmac_f32_e32 v22, v45, v28
	v_add_f32_e32 v44, v21, v18
	v_add_f32_e32 v18, v20, v22
	v_sub_f32_e32 v21, v19, v18
	v_pk_add_f32 v[24:25], v[18:19], v[20:21] neg_lo:[0,1] neg_hi:[0,1]
	v_mov_b32_e32 v23, v18
	v_pk_add_f32 v[18:19], v[24:25], v[22:23] neg_lo:[0,1] neg_hi:[0,1]
	s_mov_b32 s0, 0x3f317218
	v_add_f32_e32 v19, v44, v19
	v_add_f32_e32 v18, v18, v19
	;; [unrolled: 1-line block ×3, first 2 shown]
	v_mul_f32_e32 v44, v29, v19
	v_mul_f32_e32 v20, v27, v44
	v_fma_f32 v22, v44, v27, -v20
	v_fmac_f32_e32 v22, v44, v28
	v_sub_f32_e32 v21, v21, v19
	v_add_f32_e32 v27, v18, v21
	v_add_f32_e32 v18, v20, v22
	v_sub_f32_e32 v21, v19, v18
	v_pk_add_f32 v[24:25], v[18:19], v[20:21] neg_lo:[0,1] neg_hi:[0,1]
	v_mov_b32_e32 v23, v18
	v_pk_add_f32 v[18:19], v[24:25], v[22:23] neg_lo:[0,1] neg_hi:[0,1]
	v_cvt_f32_i32_e32 v20, v26
	v_add_f32_e32 v19, v27, v19
	v_add_f32_e32 v18, v18, v19
	;; [unrolled: 1-line block ×4, first 2 shown]
	v_sub_f32_e32 v19, v21, v45
	v_mul_f32_e32 v18, v29, v18
	v_sub_f32_e32 v19, v44, v19
	v_add_f32_e32 v18, v19, v18
	v_add_f32_e32 v22, v21, v18
	v_mul_f32_e32 v24, v22, v22
	v_mov_b32_e32 v19, 0x3ecc95a3
	v_sub_f32_e32 v21, v22, v21
	v_fmac_f32_e32 v19, 0x3e9b6dac, v24
	v_sub_f32_e32 v18, v18, v21
	v_fmaak_f32 v19, v24, v19, 0x3f2aaada
	v_ldexp_f32 v25, v18, 1
	v_mul_f32_e32 v21, v22, v24
	v_mov_b32_e32 v18, 0x3f317218
	v_pk_mul_f32 v[18:19], v[20:21], v[18:19]
	v_ldexp_f32 v23, v22, 1
	v_fma_f32 v21, v20, s0, -v18
	v_fmamk_f32 v22, v20, 0xb102e308, v21
	v_pk_add_f32 v[20:21], v[18:19], v[22:23]
	v_mov_b32_e32 v24, v18
	v_sub_f32_e32 v23, v21, v23
	v_sub_f32_e32 v23, v19, v23
	v_add_f32_e32 v25, v25, v23
	v_pk_add_f32 v[18:19], v[20:21], v[18:19] neg_lo:[0,1] neg_hi:[0,1]
	v_pk_add_f32 v[26:27], v[20:21], v[24:25]
	v_mov_b32_e32 v23, v20
	v_mov_b32_e32 v19, v27
	v_pk_add_f32 v[28:29], v[22:23], v[18:19] neg_lo:[0,1] neg_hi:[0,1]
	v_pk_add_f32 v[18:19], v[22:23], v[18:19]
	v_mov_b32_e32 v24, v25
	v_pk_add_f32 v[22:23], v[18:19], v[20:21] op_sel:[1,0] op_sel_hi:[0,1] neg_lo:[0,1] neg_hi:[0,1]
	v_pk_add_f32 v[44:45], v[26:27], v[22:23] op_sel_hi:[1,0] neg_lo:[0,1] neg_hi:[0,1]
	v_mov_b32_e32 v26, v27
	v_mov_b32_e32 v27, v19
	v_pk_mov_b32 v[22:23], v[20:21], v[22:23] op_sel:[1,0]
	v_mov_b32_e32 v25, v20
	v_pk_add_f32 v[22:23], v[26:27], v[22:23] neg_lo:[0,1] neg_hi:[0,1]
	v_mov_b32_e32 v44, v28
	v_pk_add_f32 v[20:21], v[24:25], v[22:23] neg_lo:[0,1] neg_hi:[0,1]
	v_mov_b32_e32 v29, v19
	v_pk_add_f32 v[22:23], v[44:45], v[20:21]
	v_cmp_neq_f32_e64 s[0:1], s3, v1
	v_pk_add_f32 v[24:25], v[22:23], v[22:23] op_sel:[0,1] op_sel_hi:[1,0]
	s_nop 0
	v_pk_add_f32 v[18:19], v[18:19], v[24:25] op_sel:[1,0] op_sel_hi:[0,1]
	v_mov_b32_e32 v23, v18
	v_pk_add_f32 v[26:27], v[22:23], v[28:29] neg_lo:[0,1] neg_hi:[0,1]
	v_mov_b32_e32 v21, v24
	v_sub_f32_e32 v19, v22, v26
	v_pk_add_f32 v[20:21], v[20:21], v[26:27] neg_lo:[0,1] neg_hi:[0,1]
	v_sub_f32_e32 v19, v28, v19
	v_add_f32_e32 v19, v20, v19
	v_add_f32_e32 v19, v19, v21
	;; [unrolled: 1-line block ×3, first 2 shown]
	v_cndmask_b32_e64 v18, v46, v18, s[0:1]
	s_mov_b32 s0, 0x33800000
	v_cmp_gt_f32_e64 s[0:1], s0, v1
	s_nop 1
	v_cndmask_b32_e64 v1, v18, v1, s[0:1]
.LBB6_12:
	s_or_b64 exec, exec, s[14:15]
	s_lshl_b64 s[14:15], s[22:23], 2
	v_lshl_add_u64 v[60:61], v[60:61], 0, s[14:15]
	global_load_dword v62, v[60:61], off
	v_mul_f32_e32 v65, v1, v14
	s_mov_b32 s22, 0x3fb8aa3b
	v_mul_f32_e32 v75, v1, v15
	v_mul_f32_e32 v74, 0x3fb8aa3b, v65
	;; [unrolled: 1-line block ×4, first 2 shown]
	v_fma_f32 v84, v65, s22, -v74
	v_rndne_f32_e32 v85, v74
	v_mul_f32_e32 v77, v1, v17
	v_mul_f32_e32 v81, 0x3fb8aa3b, v76
	v_fma_f32 v86, v75, s22, -v80
	v_rndne_f32_e32 v87, v80
	v_fmac_f32_e32 v84, 0x32a5705f, v65
	v_sub_f32_e32 v74, v74, v85
	v_mul_f32_e32 v82, 0x3fb8aa3b, v77
	v_fma_f32 v88, v76, s22, -v81
	v_rndne_f32_e32 v90, v81
	v_fmac_f32_e32 v86, 0x32a5705f, v75
	v_sub_f32_e32 v80, v80, v87
	v_add_f32_e32 v74, v74, v84
	v_fma_f32 v89, v77, s22, -v82
	v_rndne_f32_e32 v91, v82
	v_fmac_f32_e32 v88, 0x32a5705f, v76
	v_sub_f32_e32 v81, v81, v90
	v_cvt_i32_f32_e32 v85, v85
	v_add_f32_e32 v80, v80, v86
	v_exp_f32_e32 v74, v74
	v_fmac_f32_e32 v89, 0x32a5705f, v77
	v_cvt_i32_f32_e32 v87, v87
	v_sub_f32_e32 v82, v82, v91
	v_add_f32_e32 v81, v81, v88
	v_exp_f32_e32 v80, v80
	v_cvt_i32_f32_e32 v90, v90
	v_add_f32_e32 v82, v82, v89
	v_exp_f32_e32 v81, v81
	s_mov_b32 s3, 0xc2ce8ed0
	v_cvt_i32_f32_e32 v91, v91
	v_exp_f32_e32 v82, v82
	v_ldexp_f32 v74, v74, v85
	v_cmp_ngt_f32_e64 s[0:1], s3, v65
	v_ldexp_f32 v80, v80, v87
	v_ldexp_f32 v81, v81, v90
	v_cndmask_b32_e64 v74, 0, v74, s[0:1]
	v_cmp_ngt_f32_e64 s[0:1], s3, v75
	s_mov_b32 s20, 0x42b17218
	v_ldexp_f32 v82, v82, v91
	v_cndmask_b32_e64 v80, 0, v80, s[0:1]
	v_cmp_ngt_f32_e64 s[0:1], s3, v76
	v_mov_b32_e32 v64, 0x7f800000
	v_mov_b32_e32 v78, 0
	v_cndmask_b32_e64 v81, 0, v81, s[0:1]
	v_cmp_ngt_f32_e64 s[0:1], s3, v77
	ds_read_b128 v[44:47], v78
	ds_read_b128 v[26:29], v78 offset:16
	ds_read_b128 v[22:25], v78 offset:32
	;; [unrolled: 1-line block ×3, first 2 shown]
	v_cndmask_b32_e64 v82, 0, v82, s[0:1]
	v_cmp_nlt_f32_e64 s[0:1], s20, v65
	v_mul_f32_e32 v79, v1, v10
	v_mul_f32_e32 v83, 0x3fb8aa3b, v79
	v_cndmask_b32_e64 v74, v64, v74, s[0:1]
	v_cmp_nlt_f32_e64 s[0:1], s20, v75
	v_fma_f32 v92, v79, s22, -v83
	v_rndne_f32_e32 v93, v83
	v_cndmask_b32_e64 v75, v64, v80, s[0:1]
	v_cmp_nlt_f32_e64 s[0:1], s20, v76
	v_fmac_f32_e32 v92, 0x32a5705f, v79
	v_sub_f32_e32 v83, v83, v93
	v_cndmask_b32_e64 v76, v64, v81, s[0:1]
	v_cmp_nlt_f32_e64 s[0:1], s20, v77
	v_add_f32_e32 v83, v83, v92
	v_cvt_i32_f32_e32 v93, v93
	v_cndmask_b32_e64 v77, v64, v82, s[0:1]
	v_exp_f32_e32 v83, v83
	v_cmp_ngt_f32_e64 s[0:1], s3, v79
	ds_read_b128 v[66:69], v78 offset:64
	ds_read_b128 v[70:73], v78 offset:80
	v_ldexp_f32 v83, v83, v93
	s_waitcnt vmcnt(0)
	v_mul_f32_e32 v62, v1, v62
	s_waitcnt lgkmcnt(5)
	v_pk_mul_f32 v[44:45], v[62:63], v[44:45] op_sel_hi:[0,1]
	v_pk_mul_f32 v[46:47], v[62:63], v[46:47] op_sel_hi:[0,1]
	v_pk_fma_f32 v[32:33], v[32:33], v[74:75], v[44:45]
	v_pk_fma_f32 v[44:45], v[40:41], v[76:77], v[46:47]
	v_mul_f32_e32 v41, v1, v11
	v_mul_f32_e32 v40, 0x3fb8aa3b, v41
	v_fma_f32 v46, v41, s22, -v40
	v_rndne_f32_e32 v47, v40
	v_fmac_f32_e32 v46, 0x32a5705f, v41
	v_sub_f32_e32 v40, v40, v47
	v_add_f32_e32 v40, v40, v46
	v_exp_f32_e32 v46, v40
	v_cvt_i32_f32_e32 v47, v47
	v_cndmask_b32_e64 v40, 0, v83, s[0:1]
	v_cmp_nlt_f32_e64 s[0:1], s20, v79
	s_waitcnt lgkmcnt(4)
	v_pk_mul_f32 v[26:27], v[62:63], v[26:27] op_sel_hi:[0,1]
	v_ldexp_f32 v46, v46, v47
	v_cndmask_b32_e64 v40, v64, v40, s[0:1]
	v_cmp_ngt_f32_e64 s[0:1], s3, v41
	s_waitcnt lgkmcnt(1)
	v_fma_f32 v65, v66, v32, 0
	v_fmac_f32_e32 v65, v67, v33
	v_cndmask_b32_e64 v46, 0, v46, s[0:1]
	v_cmp_nlt_f32_e64 s[0:1], s20, v41
	v_fmac_f32_e32 v65, v68, v44
	v_fmac_f32_e32 v65, v69, v45
	v_cndmask_b32_e64 v41, v64, v46, s[0:1]
	v_pk_fma_f32 v[46:47], v[42:43], v[40:41], v[26:27]
	v_mul_f32_e32 v40, v1, v12
	v_mul_f32_e32 v26, 0x3fb8aa3b, v40
	v_fma_f32 v27, v40, s22, -v26
	v_rndne_f32_e32 v41, v26
	v_fmac_f32_e32 v27, 0x32a5705f, v40
	v_sub_f32_e32 v26, v26, v41
	v_add_f32_e32 v26, v26, v27
	v_exp_f32_e32 v42, v26
	v_cvt_i32_f32_e32 v41, v41
	s_waitcnt lgkmcnt(0)
	v_pk_mul_f32 v[26:27], v[70:71], v[46:47]
	v_cmp_ngt_f32_e64 s[0:1], s3, v40
	v_add_f32_e32 v26, v65, v26
	v_add_f32_e32 v43, v26, v27
	v_mul_f32_e32 v27, v1, v13
	v_ldexp_f32 v26, v42, v41
	v_mul_f32_e32 v41, 0x3fb8aa3b, v27
	v_fma_f32 v42, v27, s22, -v41
	v_rndne_f32_e32 v65, v41
	v_fmac_f32_e32 v42, 0x32a5705f, v27
	v_sub_f32_e32 v41, v41, v65
	v_add_f32_e32 v41, v41, v42
	v_exp_f32_e32 v41, v41
	v_cvt_i32_f32_e32 v42, v65
	v_cndmask_b32_e64 v26, 0, v26, s[0:1]
	v_cmp_nlt_f32_e64 s[0:1], s20, v40
	v_pk_mul_f32 v[28:29], v[62:63], v[28:29] op_sel_hi:[0,1]
	v_ldexp_f32 v40, v41, v42
	v_cndmask_b32_e64 v26, v64, v26, s[0:1]
	v_cmp_ngt_f32_e64 s[0:1], s3, v27
	v_pk_mul_f32 v[22:23], v[62:63], v[22:23] op_sel_hi:[0,1]
	v_mul_f32_e32 v66, v1, v8
	v_cndmask_b32_e64 v40, 0, v40, s[0:1]
	v_cmp_nlt_f32_e64 s[0:1], s20, v27
	v_pk_mul_f32 v[24:25], v[62:63], v[24:25] op_sel_hi:[0,1]
	v_pk_mul_f32 v[18:19], v[62:63], v[18:19] op_sel_hi:[0,1]
	v_cndmask_b32_e64 v27, v64, v40, s[0:1]
	v_pk_fma_f32 v[48:49], v[48:49], v[26:27], v[28:29]
	v_mul_f32_e32 v28, v1, v6
	v_mul_f32_e32 v26, 0x3fb8aa3b, v28
	v_fma_f32 v27, v28, s22, -v26
	v_rndne_f32_e32 v29, v26
	v_fmac_f32_e32 v27, 0x32a5705f, v28
	v_sub_f32_e32 v26, v26, v29
	v_add_f32_e32 v26, v26, v27
	v_exp_f32_e32 v40, v26
	v_cvt_i32_f32_e32 v29, v29
	v_pk_mul_f32 v[26:27], v[72:73], v[48:49]
	v_cmp_ngt_f32_e64 s[0:1], s3, v28
	v_add_f32_e32 v26, v43, v26
	v_add_f32_e32 v65, v26, v27
	v_mul_f32_e32 v27, v1, v7
	v_ldexp_f32 v26, v40, v29
	v_mul_f32_e32 v29, 0x3fb8aa3b, v27
	v_fma_f32 v40, v27, s22, -v29
	v_rndne_f32_e32 v41, v29
	v_fmac_f32_e32 v40, 0x32a5705f, v27
	v_sub_f32_e32 v29, v29, v41
	v_add_f32_e32 v29, v29, v40
	v_exp_f32_e32 v29, v29
	v_cvt_i32_f32_e32 v40, v41
	v_cndmask_b32_e64 v26, 0, v26, s[0:1]
	v_cmp_nlt_f32_e64 s[0:1], s20, v28
	v_pk_mul_f32 v[20:21], v[62:63], v[20:21] op_sel_hi:[0,1]
	v_ldexp_f32 v28, v29, v40
	v_cndmask_b32_e64 v26, v64, v26, s[0:1]
	v_cmp_ngt_f32_e64 s[0:1], s3, v27
	s_nop 1
	v_cndmask_b32_e64 v28, 0, v28, s[0:1]
	v_cmp_nlt_f32_e64 s[0:1], s20, v27
	s_nop 1
	v_cndmask_b32_e64 v27, v64, v28, s[0:1]
	v_pk_fma_f32 v[50:51], v[50:51], v[26:27], v[22:23]
	ds_read_b128 v[26:29], v78 offset:96
	v_mul_f32_e32 v22, 0x3fb8aa3b, v66
	v_fma_f32 v23, v66, s22, -v22
	v_rndne_f32_e32 v40, v22
	v_fmac_f32_e32 v23, 0x32a5705f, v66
	v_sub_f32_e32 v22, v22, v40
	v_add_f32_e32 v22, v22, v23
	v_exp_f32_e32 v67, v22
	v_cvt_i32_f32_e32 v68, v40
	ds_read_b128 v[40:43], v78 offset:112
	s_waitcnt lgkmcnt(1)
	v_pk_mul_f32 v[22:23], v[26:27], v[50:51]
	v_cmp_ngt_f32_e64 s[0:1], s3, v66
	v_add_f32_e32 v22, v65, v22
	v_add_f32_e32 v26, v22, v23
	v_mul_f32_e32 v23, v1, v9
	v_mul_f32_e32 v27, 0x3fb8aa3b, v23
	v_ldexp_f32 v22, v67, v68
	v_fma_f32 v65, v23, s22, -v27
	v_rndne_f32_e32 v67, v27
	v_fmac_f32_e32 v65, 0x32a5705f, v23
	v_sub_f32_e32 v27, v27, v67
	v_add_f32_e32 v27, v27, v65
	v_exp_f32_e32 v27, v27
	v_cvt_i32_f32_e32 v65, v67
	v_cndmask_b32_e64 v22, 0, v22, s[0:1]
	v_cmp_nlt_f32_e64 s[0:1], s20, v66
	v_ldexp_f32 v27, v27, v65
	s_nop 0
	v_cndmask_b32_e64 v22, v64, v22, s[0:1]
	v_cmp_ngt_f32_e64 s[0:1], s3, v23
	s_nop 1
	v_cndmask_b32_e64 v27, 0, v27, s[0:1]
	v_cmp_nlt_f32_e64 s[0:1], s20, v23
	s_nop 1
	v_cndmask_b32_e64 v23, v64, v27, s[0:1]
	v_pk_fma_f32 v[52:53], v[52:53], v[22:23], v[24:25]
	v_mul_f32_e32 v24, v1, v2
	v_mul_f32_e32 v22, 0x3fb8aa3b, v24
	v_fma_f32 v23, v24, s22, -v22
	v_rndne_f32_e32 v25, v22
	v_fmac_f32_e32 v23, 0x32a5705f, v24
	v_sub_f32_e32 v22, v22, v25
	v_add_f32_e32 v22, v22, v23
	v_exp_f32_e32 v27, v22
	v_cvt_i32_f32_e32 v25, v25
	v_pk_mul_f32 v[22:23], v[28:29], v[52:53]
	v_cmp_ngt_f32_e64 s[0:1], s3, v24
	v_add_f32_e32 v22, v26, v22
	v_add_f32_e32 v26, v22, v23
	v_mul_f32_e32 v23, v1, v3
	v_ldexp_f32 v22, v27, v25
	v_mul_f32_e32 v25, 0x3fb8aa3b, v23
	v_fma_f32 v27, v23, s22, -v25
	v_rndne_f32_e32 v28, v25
	v_fmac_f32_e32 v27, 0x32a5705f, v23
	v_sub_f32_e32 v25, v25, v28
	v_add_f32_e32 v25, v25, v27
	v_exp_f32_e32 v25, v25
	v_cvt_i32_f32_e32 v27, v28
	v_cndmask_b32_e64 v22, 0, v22, s[0:1]
	v_cmp_nlt_f32_e64 s[0:1], s20, v24
	v_ldexp_f32 v24, v25, v27
	s_nop 0
	v_cndmask_b32_e64 v22, v64, v22, s[0:1]
	v_cmp_ngt_f32_e64 s[0:1], s3, v23
	s_nop 1
	v_cndmask_b32_e64 v24, 0, v24, s[0:1]
	v_cmp_nlt_f32_e64 s[0:1], s20, v23
	s_nop 1
	v_cndmask_b32_e64 v23, v64, v24, s[0:1]
	v_pk_fma_f32 v[54:55], v[54:55], v[22:23], v[18:19]
	v_mul_f32_e32 v22, v1, v4
	v_mul_f32_e32 v18, 0x3fb8aa3b, v22
	v_fma_f32 v19, v22, s22, -v18
	v_rndne_f32_e32 v23, v18
	v_fmac_f32_e32 v19, 0x32a5705f, v22
	v_sub_f32_e32 v18, v18, v23
	v_add_f32_e32 v18, v18, v19
	v_exp_f32_e32 v24, v18
	v_cvt_i32_f32_e32 v23, v23
	s_waitcnt lgkmcnt(0)
	v_pk_mul_f32 v[18:19], v[40:41], v[54:55]
	v_mul_f32_e32 v1, v1, v5
	v_add_f32_e32 v18, v26, v18
	v_add_f32_e32 v25, v18, v19
	v_mul_f32_e32 v19, 0x3fb8aa3b, v1
	v_ldexp_f32 v18, v24, v23
	v_fma_f32 v23, v1, s22, -v19
	v_rndne_f32_e32 v24, v19
	v_fmac_f32_e32 v23, 0x32a5705f, v1
	v_sub_f32_e32 v19, v19, v24
	v_add_f32_e32 v19, v19, v23
	v_exp_f32_e32 v19, v19
	v_cvt_i32_f32_e32 v23, v24
	v_cmp_ngt_f32_e64 s[0:1], s3, v22
	v_ldexp_f32 v19, v19, v23
	s_nop 0
	v_cndmask_b32_e64 v18, 0, v18, s[0:1]
	v_cmp_nlt_f32_e64 s[0:1], s20, v22
	s_nop 1
	v_cndmask_b32_e64 v18, v64, v18, s[0:1]
	v_cmp_ngt_f32_e64 s[0:1], s3, v1
	s_nop 1
	v_cndmask_b32_e64 v19, 0, v19, s[0:1]
	v_cmp_nlt_f32_e64 s[0:1], s20, v1
	s_nop 1
	v_cndmask_b32_e64 v19, v64, v19, s[0:1]
	v_pk_fma_f32 v[56:57], v[56:57], v[18:19], v[20:21]
	s_ashr_i64 s[0:1], s[6:7], 29
	v_pk_mul_f32 v[18:19], v[42:43], v[56:57]
	s_nop 0
	v_add_f32_e32 v1, v25, v18
	v_add_f32_e32 v1, v1, v19
	v_lshl_add_u64 v[18:19], v[30:31], 0, s[0:1]
	global_store_dword v[18:19], v1, off
	s_barrier
	s_and_saveexec_b64 s[0:1], vcc
	s_cbranch_execz .LBB6_14
; %bb.13:
	v_mad_i64_i32 v[18:19], s[22:23], s4, 12, v[38:39]
	global_load_dword v1, v[18:19], off
	v_mad_i64_i32 v[18:19], s[22:23], s12, 12, v[36:37]
	global_load_dword v18, v[18:19], off
	s_waitcnt vmcnt(1)
	ds_write_b32 v0, v1
	s_waitcnt vmcnt(0)
	ds_write_b32 v63, v18
.LBB6_14:
	s_or_b64 exec, exec, s[0:1]
	v_lshl_add_u64 v[58:59], v[58:59], 0, s[16:17]
	s_waitcnt lgkmcnt(0)
	s_barrier
	global_load_dword v1, v[58:59], off
	s_mov_b32 s0, 0x41a00000
	s_bfe_i64 s[10:11], s[10:11], 0x200000
	s_waitcnt vmcnt(0)
	v_cmp_ge_f32_e64 s[0:1], s0, v1
	s_and_saveexec_b64 s[22:23], s[0:1]
	s_cbranch_execz .LBB6_16
; %bb.15:
	v_mul_f32_e32 v18, 0x3fb8aa3b, v1
	s_mov_b32 s0, 0x3fb8aa3b
	v_rndne_f32_e32 v19, v18
	v_sub_f32_e32 v20, v18, v19
	v_fma_f32 v18, v1, s0, -v18
	v_fmamk_f32 v18, v1, 0x32a5705f, v18
	v_add_f32_e32 v18, v20, v18
	v_exp_f32_e32 v18, v18
	v_cvt_i32_f32_e32 v19, v19
	s_mov_b32 s0, 0xc2ce8ed0
	v_cmp_ngt_f32_e64 s[0:1], s0, v1
	v_mov_b32_e32 v42, 0x7f800000
	v_ldexp_f32 v18, v18, v19
	v_cndmask_b32_e64 v18, 0, v18, s[0:1]
	s_mov_b32 s0, 0x42b17218
	v_cmp_nlt_f32_e64 s[0:1], s0, v1
	s_mov_b32 s3, 0x7f800000
	s_nop 0
	v_cndmask_b32_e64 v1, v42, v18, s[0:1]
	v_add_f32_e32 v20, 1.0, v1
	v_add_f32_e32 v18, -1.0, v20
	v_sub_f32_e32 v19, v18, v20
	v_add_f32_e32 v19, 1.0, v19
	v_sub_f32_e32 v18, v1, v18
	v_add_f32_e32 v21, v18, v19
	v_frexp_mant_f32_e32 v22, v20
	s_mov_b32 s0, 0x3f2aaaab
	v_cvt_f64_f32_e32 v[18:19], v20
	v_frexp_exp_i32_f64_e32 v18, v[18:19]
	v_cmp_gt_f32_e64 s[0:1], s0, v22
	s_nop 1
	v_subbrev_co_u32_e64 v26, s[0:1], 0, v18, s[0:1]
	v_sub_u32_e32 v18, 0, v26
	v_ldexp_f32 v19, v20, v18
	v_add_f32_e32 v20, -1.0, v19
	v_add_f32_e32 v22, 1.0, v19
	v_ldexp_f32 v18, v21, v18
	v_add_f32_e32 v21, 1.0, v20
	v_add_f32_e32 v23, -1.0, v22
	v_sub_f32_e32 v21, v19, v21
	v_sub_f32_e32 v19, v19, v23
	v_add_f32_e32 v21, v18, v21
	v_add_f32_e32 v18, v18, v19
	v_add_f32_e32 v27, v22, v18
	v_rcp_f32_e32 v29, v27
	v_sub_f32_e32 v19, v22, v27
	v_add_f32_e32 v28, v18, v19
	v_add_f32_e32 v19, v20, v21
	v_mul_f32_e32 v41, v19, v29
	v_sub_f32_e32 v18, v20, v19
	v_mul_f32_e32 v20, v27, v41
	v_fma_f32 v22, v41, v27, -v20
	v_fmac_f32_e32 v22, v41, v28
	v_add_f32_e32 v40, v21, v18
	v_add_f32_e32 v18, v20, v22
	v_sub_f32_e32 v21, v19, v18
	v_pk_add_f32 v[24:25], v[18:19], v[20:21] neg_lo:[0,1] neg_hi:[0,1]
	v_mov_b32_e32 v23, v18
	v_pk_add_f32 v[18:19], v[24:25], v[22:23] neg_lo:[0,1] neg_hi:[0,1]
	s_mov_b32 s0, 0x3f317218
	v_add_f32_e32 v19, v40, v19
	v_add_f32_e32 v18, v18, v19
	;; [unrolled: 1-line block ×3, first 2 shown]
	v_mul_f32_e32 v40, v29, v19
	v_mul_f32_e32 v20, v27, v40
	v_fma_f32 v22, v40, v27, -v20
	v_fmac_f32_e32 v22, v40, v28
	v_sub_f32_e32 v21, v21, v19
	v_add_f32_e32 v27, v18, v21
	v_add_f32_e32 v18, v20, v22
	v_sub_f32_e32 v21, v19, v18
	v_pk_add_f32 v[24:25], v[18:19], v[20:21] neg_lo:[0,1] neg_hi:[0,1]
	v_mov_b32_e32 v23, v18
	v_pk_add_f32 v[18:19], v[24:25], v[22:23] neg_lo:[0,1] neg_hi:[0,1]
	v_cvt_f32_i32_e32 v20, v26
	v_add_f32_e32 v19, v27, v19
	v_add_f32_e32 v18, v18, v19
	;; [unrolled: 1-line block ×4, first 2 shown]
	v_sub_f32_e32 v19, v21, v41
	v_mul_f32_e32 v18, v29, v18
	v_sub_f32_e32 v19, v40, v19
	v_add_f32_e32 v18, v19, v18
	v_add_f32_e32 v22, v21, v18
	v_mul_f32_e32 v24, v22, v22
	v_mov_b32_e32 v19, 0x3ecc95a3
	v_sub_f32_e32 v21, v22, v21
	v_fmac_f32_e32 v19, 0x3e9b6dac, v24
	v_sub_f32_e32 v18, v18, v21
	v_fmaak_f32 v19, v24, v19, 0x3f2aaada
	v_ldexp_f32 v25, v18, 1
	v_mul_f32_e32 v21, v22, v24
	v_mov_b32_e32 v18, 0x3f317218
	v_pk_mul_f32 v[18:19], v[20:21], v[18:19]
	v_ldexp_f32 v23, v22, 1
	v_fma_f32 v21, v20, s0, -v18
	v_fmamk_f32 v22, v20, 0xb102e308, v21
	v_pk_add_f32 v[20:21], v[18:19], v[22:23]
	v_mov_b32_e32 v24, v18
	v_sub_f32_e32 v23, v21, v23
	v_sub_f32_e32 v23, v19, v23
	v_add_f32_e32 v25, v25, v23
	v_pk_add_f32 v[18:19], v[20:21], v[18:19] neg_lo:[0,1] neg_hi:[0,1]
	v_pk_add_f32 v[26:27], v[20:21], v[24:25]
	v_mov_b32_e32 v23, v20
	v_mov_b32_e32 v19, v27
	v_pk_add_f32 v[28:29], v[22:23], v[18:19] neg_lo:[0,1] neg_hi:[0,1]
	v_pk_add_f32 v[18:19], v[22:23], v[18:19]
	v_mov_b32_e32 v24, v25
	v_pk_add_f32 v[22:23], v[18:19], v[20:21] op_sel:[1,0] op_sel_hi:[0,1] neg_lo:[0,1] neg_hi:[0,1]
	v_pk_add_f32 v[40:41], v[26:27], v[22:23] op_sel_hi:[1,0] neg_lo:[0,1] neg_hi:[0,1]
	v_mov_b32_e32 v26, v27
	v_mov_b32_e32 v27, v19
	v_pk_mov_b32 v[22:23], v[20:21], v[22:23] op_sel:[1,0]
	v_mov_b32_e32 v25, v20
	v_pk_add_f32 v[22:23], v[26:27], v[22:23] neg_lo:[0,1] neg_hi:[0,1]
	v_mov_b32_e32 v40, v28
	v_pk_add_f32 v[20:21], v[24:25], v[22:23] neg_lo:[0,1] neg_hi:[0,1]
	v_mov_b32_e32 v29, v19
	v_pk_add_f32 v[22:23], v[40:41], v[20:21]
	v_cmp_neq_f32_e64 s[0:1], s3, v1
	v_pk_add_f32 v[24:25], v[22:23], v[22:23] op_sel:[0,1] op_sel_hi:[1,0]
	s_nop 0
	v_pk_add_f32 v[18:19], v[18:19], v[24:25] op_sel:[1,0] op_sel_hi:[0,1]
	v_mov_b32_e32 v23, v18
	v_pk_add_f32 v[26:27], v[22:23], v[28:29] neg_lo:[0,1] neg_hi:[0,1]
	v_mov_b32_e32 v21, v24
	v_sub_f32_e32 v19, v22, v26
	v_pk_add_f32 v[20:21], v[20:21], v[26:27] neg_lo:[0,1] neg_hi:[0,1]
	v_sub_f32_e32 v19, v28, v19
	v_add_f32_e32 v19, v20, v19
	v_add_f32_e32 v19, v19, v21
	;; [unrolled: 1-line block ×3, first 2 shown]
	v_cndmask_b32_e64 v18, v42, v18, s[0:1]
	s_mov_b32 s0, 0x33800000
	v_cmp_gt_f32_e64 s[0:1], s0, v1
	s_nop 1
	v_cndmask_b32_e64 v1, v18, v1, s[0:1]
.LBB6_16:
	s_or_b64 exec, exec, s[22:23]
	v_lshl_add_u64 v[42:43], v[60:61], 0, s[14:15]
	global_load_dword v60, v[42:43], off
	v_mul_f32_e32 v40, v1, v14
	s_mov_b32 s20, 0x3fb8aa3b
	v_mul_f32_e32 v41, v1, v15
	v_mul_f32_e32 v79, 0x3fb8aa3b, v40
	;; [unrolled: 1-line block ×4, first 2 shown]
	v_fma_f32 v84, v40, s20, -v79
	v_rndne_f32_e32 v85, v79
	v_mul_f32_e32 v77, v1, v17
	v_mul_f32_e32 v81, 0x3fb8aa3b, v76
	v_fma_f32 v86, v41, s20, -v80
	v_rndne_f32_e32 v87, v80
	v_fmac_f32_e32 v84, 0x32a5705f, v40
	v_sub_f32_e32 v79, v79, v85
	v_mul_f32_e32 v82, 0x3fb8aa3b, v77
	v_fma_f32 v88, v76, s20, -v81
	v_rndne_f32_e32 v90, v81
	v_fmac_f32_e32 v86, 0x32a5705f, v41
	v_sub_f32_e32 v80, v80, v87
	v_add_f32_e32 v79, v79, v84
	v_fma_f32 v89, v77, s20, -v82
	v_rndne_f32_e32 v91, v82
	v_fmac_f32_e32 v88, 0x32a5705f, v76
	v_sub_f32_e32 v81, v81, v90
	v_cvt_i32_f32_e32 v85, v85
	v_add_f32_e32 v80, v80, v86
	v_exp_f32_e32 v79, v79
	v_fmac_f32_e32 v89, 0x32a5705f, v77
	v_cvt_i32_f32_e32 v87, v87
	v_sub_f32_e32 v82, v82, v91
	v_add_f32_e32 v81, v81, v88
	v_exp_f32_e32 v80, v80
	v_cvt_i32_f32_e32 v90, v90
	v_add_f32_e32 v82, v82, v89
	v_exp_f32_e32 v81, v81
	s_mov_b32 s3, 0xc2ce8ed0
	v_cvt_i32_f32_e32 v91, v91
	v_exp_f32_e32 v82, v82
	v_ldexp_f32 v79, v79, v85
	v_cmp_ngt_f32_e64 s[0:1], s3, v40
	v_ldexp_f32 v80, v80, v87
	v_ldexp_f32 v81, v81, v90
	v_cndmask_b32_e64 v79, 0, v79, s[0:1]
	v_cmp_ngt_f32_e64 s[0:1], s3, v41
	s_mov_b32 s11, 0x42b17218
	v_ldexp_f32 v82, v82, v91
	v_cndmask_b32_e64 v80, 0, v80, s[0:1]
	v_cmp_ngt_f32_e64 s[0:1], s3, v76
	v_mov_b32_e32 v61, 0x7f800000
	v_mov_b32_e32 v62, 0
	v_cndmask_b32_e64 v81, 0, v81, s[0:1]
	v_cmp_ngt_f32_e64 s[0:1], s3, v77
	ds_read_b128 v[64:67], v62
	ds_read_b128 v[26:29], v62 offset:16
	ds_read_b128 v[22:25], v62 offset:32
	;; [unrolled: 1-line block ×3, first 2 shown]
	v_cndmask_b32_e64 v82, 0, v82, s[0:1]
	v_cmp_nlt_f32_e64 s[0:1], s11, v40
	v_mul_f32_e32 v78, v1, v10
	v_mul_f32_e32 v83, 0x3fb8aa3b, v78
	v_cndmask_b32_e64 v40, v61, v79, s[0:1]
	v_cmp_nlt_f32_e64 s[0:1], s11, v41
	v_fma_f32 v92, v78, s20, -v83
	v_rndne_f32_e32 v93, v83
	v_cndmask_b32_e64 v41, v61, v80, s[0:1]
	v_cmp_nlt_f32_e64 s[0:1], s11, v76
	v_fmac_f32_e32 v92, 0x32a5705f, v78
	v_sub_f32_e32 v83, v83, v93
	v_cndmask_b32_e64 v76, v61, v81, s[0:1]
	v_cmp_nlt_f32_e64 s[0:1], s11, v77
	v_add_f32_e32 v83, v83, v92
	v_cvt_i32_f32_e32 v93, v93
	v_cndmask_b32_e64 v77, v61, v82, s[0:1]
	v_exp_f32_e32 v83, v83
	v_cmp_ngt_f32_e64 s[0:1], s3, v78
	ds_read_b128 v[68:71], v62 offset:64
	ds_read_b128 v[72:75], v62 offset:80
	v_ldexp_f32 v83, v83, v93
	s_waitcnt vmcnt(0)
	v_mul_f32_e32 v60, v1, v60
	s_waitcnt lgkmcnt(5)
	v_pk_mul_f32 v[64:65], v[60:61], v[64:65] op_sel_hi:[0,1]
	v_pk_mul_f32 v[66:67], v[60:61], v[66:67] op_sel_hi:[0,1]
	v_pk_fma_f32 v[40:41], v[32:33], v[40:41], v[64:65]
	v_pk_fma_f32 v[32:33], v[44:45], v[76:77], v[66:67]
	v_mul_f32_e32 v45, v1, v11
	v_mul_f32_e32 v44, 0x3fb8aa3b, v45
	v_fma_f32 v65, v45, s20, -v44
	v_rndne_f32_e32 v66, v44
	v_fmac_f32_e32 v65, 0x32a5705f, v45
	v_sub_f32_e32 v44, v44, v66
	v_add_f32_e32 v44, v44, v65
	v_exp_f32_e32 v65, v44
	v_cvt_i32_f32_e32 v66, v66
	v_cndmask_b32_e64 v44, 0, v83, s[0:1]
	v_cmp_nlt_f32_e64 s[0:1], s11, v78
	s_waitcnt lgkmcnt(4)
	v_pk_mul_f32 v[26:27], v[60:61], v[26:27] op_sel_hi:[0,1]
	v_ldexp_f32 v65, v65, v66
	v_cndmask_b32_e64 v44, v61, v44, s[0:1]
	v_cmp_ngt_f32_e64 s[0:1], s3, v45
	s_waitcnt lgkmcnt(1)
	v_fma_f32 v64, v68, v40, 0
	v_fmac_f32_e32 v64, v69, v41
	v_cndmask_b32_e64 v65, 0, v65, s[0:1]
	v_cmp_nlt_f32_e64 s[0:1], s11, v45
	v_fmac_f32_e32 v64, v70, v32
	v_fmac_f32_e32 v64, v71, v33
	v_cndmask_b32_e64 v45, v61, v65, s[0:1]
	v_pk_fma_f32 v[26:27], v[46:47], v[44:45], v[26:27]
	v_mul_f32_e32 v46, v1, v12
	v_mul_f32_e32 v44, 0x3fb8aa3b, v46
	v_fma_f32 v45, v46, s20, -v44
	v_rndne_f32_e32 v47, v44
	v_fmac_f32_e32 v45, 0x32a5705f, v46
	v_sub_f32_e32 v44, v44, v47
	v_add_f32_e32 v44, v44, v45
	v_exp_f32_e32 v65, v44
	v_cvt_i32_f32_e32 v47, v47
	s_waitcnt lgkmcnt(0)
	v_pk_mul_f32 v[44:45], v[72:73], v[26:27]
	v_cmp_ngt_f32_e64 s[0:1], s3, v46
	v_add_f32_e32 v44, v64, v44
	v_add_f32_e32 v64, v44, v45
	v_mul_f32_e32 v45, v1, v13
	v_ldexp_f32 v44, v65, v47
	v_mul_f32_e32 v47, 0x3fb8aa3b, v45
	v_fma_f32 v65, v45, s20, -v47
	v_rndne_f32_e32 v66, v47
	v_fmac_f32_e32 v65, 0x32a5705f, v45
	v_sub_f32_e32 v47, v47, v66
	v_add_f32_e32 v47, v47, v65
	v_exp_f32_e32 v47, v47
	v_cvt_i32_f32_e32 v65, v66
	v_cndmask_b32_e64 v44, 0, v44, s[0:1]
	v_cmp_nlt_f32_e64 s[0:1], s11, v46
	v_pk_mul_f32 v[28:29], v[60:61], v[28:29] op_sel_hi:[0,1]
	v_ldexp_f32 v46, v47, v65
	v_cndmask_b32_e64 v44, v61, v44, s[0:1]
	v_cmp_ngt_f32_e64 s[0:1], s3, v45
	v_pk_mul_f32 v[22:23], v[60:61], v[22:23] op_sel_hi:[0,1]
	v_mul_f32_e32 v65, v1, v8
	v_cndmask_b32_e64 v46, 0, v46, s[0:1]
	v_cmp_nlt_f32_e64 s[0:1], s11, v45
	v_pk_mul_f32 v[24:25], v[60:61], v[24:25] op_sel_hi:[0,1]
	v_pk_mul_f32 v[18:19], v[60:61], v[18:19] op_sel_hi:[0,1]
	v_cndmask_b32_e64 v45, v61, v46, s[0:1]
	v_mul_f32_e32 v46, v1, v6
	v_pk_fma_f32 v[28:29], v[48:49], v[44:45], v[28:29]
	v_mul_f32_e32 v44, 0x3fb8aa3b, v46
	v_fma_f32 v45, v46, s20, -v44
	v_rndne_f32_e32 v47, v44
	v_fmac_f32_e32 v45, 0x32a5705f, v46
	v_sub_f32_e32 v44, v44, v47
	v_add_f32_e32 v44, v44, v45
	v_exp_f32_e32 v48, v44
	v_cvt_i32_f32_e32 v47, v47
	v_pk_mul_f32 v[44:45], v[74:75], v[28:29]
	v_cmp_ngt_f32_e64 s[0:1], s3, v46
	v_add_f32_e32 v44, v64, v44
	v_add_f32_e32 v64, v44, v45
	v_mul_f32_e32 v45, v1, v7
	v_ldexp_f32 v44, v48, v47
	v_mul_f32_e32 v47, 0x3fb8aa3b, v45
	v_fma_f32 v48, v45, s20, -v47
	v_rndne_f32_e32 v49, v47
	v_fmac_f32_e32 v48, 0x32a5705f, v45
	v_sub_f32_e32 v47, v47, v49
	v_add_f32_e32 v47, v47, v48
	v_exp_f32_e32 v47, v47
	v_cvt_i32_f32_e32 v48, v49
	v_cndmask_b32_e64 v44, 0, v44, s[0:1]
	v_cmp_nlt_f32_e64 s[0:1], s11, v46
	v_pk_mul_f32 v[20:21], v[60:61], v[20:21] op_sel_hi:[0,1]
	v_ldexp_f32 v46, v47, v48
	v_cndmask_b32_e64 v44, v61, v44, s[0:1]
	v_cmp_ngt_f32_e64 s[0:1], s3, v45
	v_mul_f32_e32 v48, 0x3fb8aa3b, v65
	v_fma_f32 v49, v65, s20, -v48
	v_cndmask_b32_e64 v46, 0, v46, s[0:1]
	v_cmp_nlt_f32_e64 s[0:1], s11, v45
	v_fmac_f32_e32 v49, 0x32a5705f, v65
	s_nop 0
	v_cndmask_b32_e64 v45, v61, v46, s[0:1]
	v_pk_fma_f32 v[22:23], v[50:51], v[44:45], v[22:23]
	ds_read_b128 v[44:47], v62 offset:96
	v_rndne_f32_e32 v50, v48
	v_sub_f32_e32 v48, v48, v50
	v_add_f32_e32 v48, v48, v49
	v_exp_f32_e32 v66, v48
	v_cvt_i32_f32_e32 v67, v50
	ds_read_b128 v[48:51], v62 offset:112
	s_waitcnt lgkmcnt(1)
	v_pk_mul_f32 v[44:45], v[44:45], v[22:23]
	v_cmp_ngt_f32_e64 s[0:1], s3, v65
	v_add_f32_e32 v44, v64, v44
	v_add_f32_e32 v62, v44, v45
	v_mul_f32_e32 v45, v1, v9
	v_mul_f32_e32 v64, 0x3fb8aa3b, v45
	v_ldexp_f32 v44, v66, v67
	v_fma_f32 v66, v45, s20, -v64
	v_rndne_f32_e32 v67, v64
	v_fmac_f32_e32 v66, 0x32a5705f, v45
	v_sub_f32_e32 v64, v64, v67
	v_add_f32_e32 v64, v64, v66
	v_exp_f32_e32 v64, v64
	v_cvt_i32_f32_e32 v66, v67
	v_cndmask_b32_e64 v44, 0, v44, s[0:1]
	v_cmp_nlt_f32_e64 s[0:1], s11, v65
	v_ldexp_f32 v64, v64, v66
	s_nop 0
	v_cndmask_b32_e64 v44, v61, v44, s[0:1]
	v_cmp_ngt_f32_e64 s[0:1], s3, v45
	s_nop 1
	v_cndmask_b32_e64 v64, 0, v64, s[0:1]
	v_cmp_nlt_f32_e64 s[0:1], s11, v45
	s_nop 1
	v_cndmask_b32_e64 v45, v61, v64, s[0:1]
	v_pk_fma_f32 v[24:25], v[52:53], v[44:45], v[24:25]
	v_mul_f32_e32 v52, v1, v2
	v_mul_f32_e32 v44, 0x3fb8aa3b, v52
	v_fma_f32 v45, v52, s20, -v44
	v_rndne_f32_e32 v53, v44
	v_fmac_f32_e32 v45, 0x32a5705f, v52
	v_sub_f32_e32 v44, v44, v53
	v_add_f32_e32 v44, v44, v45
	v_exp_f32_e32 v64, v44
	v_cvt_i32_f32_e32 v53, v53
	v_pk_mul_f32 v[44:45], v[46:47], v[24:25]
	v_cmp_ngt_f32_e64 s[0:1], s3, v52
	v_add_f32_e32 v44, v62, v44
	v_add_f32_e32 v46, v44, v45
	v_mul_f32_e32 v45, v1, v3
	v_mul_f32_e32 v47, 0x3fb8aa3b, v45
	v_ldexp_f32 v44, v64, v53
	v_fma_f32 v53, v45, s20, -v47
	v_rndne_f32_e32 v62, v47
	v_fmac_f32_e32 v53, 0x32a5705f, v45
	v_sub_f32_e32 v47, v47, v62
	v_add_f32_e32 v47, v47, v53
	v_exp_f32_e32 v47, v47
	v_cvt_i32_f32_e32 v53, v62
	v_cndmask_b32_e64 v44, 0, v44, s[0:1]
	v_cmp_nlt_f32_e64 s[0:1], s11, v52
	v_ldexp_f32 v47, v47, v53
	s_nop 0
	v_cndmask_b32_e64 v44, v61, v44, s[0:1]
	v_cmp_ngt_f32_e64 s[0:1], s3, v45
	s_nop 1
	v_cndmask_b32_e64 v47, 0, v47, s[0:1]
	v_cmp_nlt_f32_e64 s[0:1], s11, v45
	s_nop 1
	v_cndmask_b32_e64 v45, v61, v47, s[0:1]
	v_mul_f32_e32 v47, v1, v4
	v_pk_fma_f32 v[18:19], v[54:55], v[44:45], v[18:19]
	v_mul_f32_e32 v44, 0x3fb8aa3b, v47
	v_fma_f32 v45, v47, s20, -v44
	v_rndne_f32_e32 v52, v44
	v_fmac_f32_e32 v45, 0x32a5705f, v47
	v_sub_f32_e32 v44, v44, v52
	v_add_f32_e32 v44, v44, v45
	v_exp_f32_e32 v53, v44
	s_waitcnt lgkmcnt(0)
	v_pk_mul_f32 v[44:45], v[48:49], v[18:19]
	v_mul_f32_e32 v1, v1, v5
	v_add_f32_e32 v44, v46, v44
	v_add_f32_e32 v46, v44, v45
	v_mul_f32_e32 v45, 0x3fb8aa3b, v1
	v_fma_f32 v48, v1, s20, -v45
	v_rndne_f32_e32 v49, v45
	v_cvt_i32_f32_e32 v52, v52
	v_fmac_f32_e32 v48, 0x32a5705f, v1
	v_sub_f32_e32 v45, v45, v49
	v_add_f32_e32 v45, v45, v48
	v_exp_f32_e32 v45, v45
	v_cvt_i32_f32_e32 v48, v49
	v_ldexp_f32 v44, v53, v52
	v_cmp_ngt_f32_e64 s[0:1], s3, v47
	v_ldexp_f32 v45, v45, v48
	s_nop 0
	v_cndmask_b32_e64 v44, 0, v44, s[0:1]
	v_cmp_nlt_f32_e64 s[0:1], s11, v47
	s_nop 1
	v_cndmask_b32_e64 v44, v61, v44, s[0:1]
	v_cmp_ngt_f32_e64 s[0:1], s3, v1
	s_nop 1
	v_cndmask_b32_e64 v45, 0, v45, s[0:1]
	v_cmp_nlt_f32_e64 s[0:1], s11, v1
	s_nop 1
	v_cndmask_b32_e64 v45, v61, v45, s[0:1]
	v_pk_fma_f32 v[20:21], v[56:57], v[44:45], v[20:21]
	s_nop 0
	v_pk_mul_f32 v[44:45], v[50:51], v[20:21]
	s_nop 0
	v_add_f32_e32 v1, v46, v44
	v_add_f32_e32 v1, v1, v45
	v_mad_i64_i32 v[44:45], s[0:1], s10, 12, v[30:31]
	global_store_dword v[44:45], v1, off
	s_barrier
	s_and_saveexec_b64 s[0:1], vcc
	s_cbranch_execz .LBB6_18
; %bb.17:
	v_lshl_add_u64 v[38:39], s[4:5], 4, v[38:39]
	global_load_dword v1, v[38:39], off
	v_lshl_add_u64 v[36:37], s[12:13], 4, v[36:37]
	global_load_dword v36, v[36:37], off
	s_waitcnt vmcnt(1)
	ds_write_b32 v0, v1
	s_waitcnt vmcnt(0)
	ds_write_b32 v63, v36
.LBB6_18:
	s_or_b64 exec, exec, s[0:1]
	v_lshl_add_u64 v[0:1], v[58:59], 0, s[16:17]
	s_waitcnt lgkmcnt(0)
	s_barrier
	global_load_dword v1, v[0:1], off
	s_mov_b32 s0, 0x41a00000
	s_waitcnt vmcnt(0)
	v_cmp_ge_f32_e32 vcc, s0, v1
	s_and_saveexec_b64 s[0:1], vcc
	s_cbranch_execz .LBB6_20
; %bb.19:
	v_mul_f32_e32 v0, 0x3fb8aa3b, v1
	s_mov_b32 s3, 0x3fb8aa3b
	v_rndne_f32_e32 v36, v0
	v_sub_f32_e32 v37, v0, v36
	v_fma_f32 v0, v1, s3, -v0
	v_fmamk_f32 v0, v1, 0x32a5705f, v0
	v_add_f32_e32 v0, v37, v0
	v_exp_f32_e32 v0, v0
	v_cvt_i32_f32_e32 v36, v36
	s_mov_b32 s3, 0xc2ce8ed0
	v_cmp_ngt_f32_e32 vcc, s3, v1
	s_mov_b32 s3, 0x42b17218
	v_ldexp_f32 v0, v0, v36
	v_cndmask_b32_e32 v0, 0, v0, vcc
	v_mov_b32_e32 v52, 0x7f800000
	v_cmp_nlt_f32_e32 vcc, s3, v1
	s_mov_b32 s3, 0x3f2aaaab
	s_mov_b32 s4, 0x7f800000
	v_cndmask_b32_e32 v53, v52, v0, vcc
	v_add_f32_e32 v36, 1.0, v53
	v_add_f32_e32 v0, -1.0, v36
	v_sub_f32_e32 v1, v0, v36
	v_add_f32_e32 v1, 1.0, v1
	v_sub_f32_e32 v0, v53, v0
	v_add_f32_e32 v37, v0, v1
	v_frexp_mant_f32_e32 v38, v36
	v_cvt_f64_f32_e32 v[0:1], v36
	v_frexp_exp_i32_f64_e32 v0, v[0:1]
	v_cmp_gt_f32_e32 vcc, s3, v38
	s_mov_b32 s3, 0x3f317218
	s_nop 0
	v_subbrev_co_u32_e32 v46, vcc, 0, v0, vcc
	v_sub_u32_e32 v0, 0, v46
	v_ldexp_f32 v1, v36, v0
	v_add_f32_e32 v36, -1.0, v1
	v_add_f32_e32 v38, 1.0, v1
	v_ldexp_f32 v0, v37, v0
	v_add_f32_e32 v37, 1.0, v36
	v_add_f32_e32 v39, -1.0, v38
	v_sub_f32_e32 v37, v1, v37
	v_sub_f32_e32 v1, v1, v39
	v_add_f32_e32 v37, v0, v37
	v_add_f32_e32 v0, v0, v1
	v_add_f32_e32 v47, v38, v0
	v_rcp_f32_e32 v49, v47
	v_sub_f32_e32 v1, v38, v47
	v_add_f32_e32 v48, v0, v1
	v_add_f32_e32 v1, v36, v37
	v_mul_f32_e32 v51, v1, v49
	v_sub_f32_e32 v0, v36, v1
	v_mul_f32_e32 v36, v47, v51
	v_fma_f32 v38, v51, v47, -v36
	v_fmac_f32_e32 v38, v51, v48
	v_add_f32_e32 v50, v37, v0
	v_add_f32_e32 v0, v36, v38
	v_sub_f32_e32 v37, v1, v0
	v_pk_add_f32 v[44:45], v[0:1], v[36:37] neg_lo:[0,1] neg_hi:[0,1]
	v_mov_b32_e32 v39, v0
	v_pk_add_f32 v[0:1], v[44:45], v[38:39] neg_lo:[0,1] neg_hi:[0,1]
	v_cmp_neq_f32_e32 vcc, s4, v53
	v_add_f32_e32 v1, v50, v1
	v_add_f32_e32 v0, v0, v1
	;; [unrolled: 1-line block ×3, first 2 shown]
	v_mul_f32_e32 v50, v49, v1
	v_mul_f32_e32 v36, v47, v50
	v_fma_f32 v38, v50, v47, -v36
	v_fmac_f32_e32 v38, v50, v48
	v_sub_f32_e32 v37, v37, v1
	v_add_f32_e32 v47, v0, v37
	v_add_f32_e32 v0, v36, v38
	v_sub_f32_e32 v37, v1, v0
	v_pk_add_f32 v[44:45], v[0:1], v[36:37] neg_lo:[0,1] neg_hi:[0,1]
	v_mov_b32_e32 v39, v0
	v_pk_add_f32 v[0:1], v[44:45], v[38:39] neg_lo:[0,1] neg_hi:[0,1]
	v_cvt_f32_i32_e32 v36, v46
	v_add_f32_e32 v1, v47, v1
	v_add_f32_e32 v0, v0, v1
	;; [unrolled: 1-line block ×4, first 2 shown]
	v_sub_f32_e32 v1, v37, v51
	v_mul_f32_e32 v0, v49, v0
	v_sub_f32_e32 v1, v50, v1
	v_add_f32_e32 v0, v1, v0
	v_add_f32_e32 v38, v37, v0
	v_mul_f32_e32 v44, v38, v38
	v_mov_b32_e32 v1, 0x3ecc95a3
	v_sub_f32_e32 v37, v38, v37
	v_fmac_f32_e32 v1, 0x3e9b6dac, v44
	v_sub_f32_e32 v0, v0, v37
	v_fmaak_f32 v1, v44, v1, 0x3f2aaada
	v_ldexp_f32 v45, v0, 1
	v_mul_f32_e32 v37, v38, v44
	v_mov_b32_e32 v0, 0x3f317218
	v_pk_mul_f32 v[0:1], v[36:37], v[0:1]
	v_ldexp_f32 v39, v38, 1
	v_fma_f32 v37, v36, s3, -v0
	v_fmamk_f32 v38, v36, 0xb102e308, v37
	v_pk_add_f32 v[36:37], v[0:1], v[38:39]
	v_mov_b32_e32 v44, v0
	v_sub_f32_e32 v39, v37, v39
	v_sub_f32_e32 v39, v1, v39
	v_add_f32_e32 v45, v45, v39
	v_pk_add_f32 v[0:1], v[36:37], v[0:1] neg_lo:[0,1] neg_hi:[0,1]
	v_pk_add_f32 v[46:47], v[36:37], v[44:45]
	v_mov_b32_e32 v39, v36
	v_mov_b32_e32 v1, v47
	v_pk_add_f32 v[48:49], v[38:39], v[0:1] neg_lo:[0,1] neg_hi:[0,1]
	v_pk_add_f32 v[0:1], v[38:39], v[0:1]
	v_mov_b32_e32 v44, v45
	v_pk_add_f32 v[38:39], v[0:1], v[36:37] op_sel:[1,0] op_sel_hi:[0,1] neg_lo:[0,1] neg_hi:[0,1]
	v_pk_add_f32 v[50:51], v[46:47], v[38:39] op_sel_hi:[1,0] neg_lo:[0,1] neg_hi:[0,1]
	v_mov_b32_e32 v46, v47
	v_mov_b32_e32 v47, v1
	v_pk_mov_b32 v[38:39], v[36:37], v[38:39] op_sel:[1,0]
	v_mov_b32_e32 v45, v36
	v_pk_add_f32 v[38:39], v[46:47], v[38:39] neg_lo:[0,1] neg_hi:[0,1]
	v_mov_b32_e32 v50, v48
	v_pk_add_f32 v[36:37], v[44:45], v[38:39] neg_lo:[0,1] neg_hi:[0,1]
	v_mov_b32_e32 v49, v1
	v_pk_add_f32 v[38:39], v[50:51], v[36:37]
	s_mov_b32 s3, 0x33800000
	v_pk_add_f32 v[44:45], v[38:39], v[38:39] op_sel:[0,1] op_sel_hi:[1,0]
	s_nop 0
	v_pk_add_f32 v[0:1], v[0:1], v[44:45] op_sel:[1,0] op_sel_hi:[0,1]
	v_mov_b32_e32 v39, v0
	v_pk_add_f32 v[46:47], v[38:39], v[48:49] neg_lo:[0,1] neg_hi:[0,1]
	v_mov_b32_e32 v37, v44
	v_sub_f32_e32 v1, v38, v46
	v_pk_add_f32 v[36:37], v[36:37], v[46:47] neg_lo:[0,1] neg_hi:[0,1]
	v_sub_f32_e32 v1, v48, v1
	v_add_f32_e32 v1, v36, v1
	v_add_f32_e32 v1, v1, v37
	;; [unrolled: 1-line block ×3, first 2 shown]
	v_cndmask_b32_e32 v0, v52, v0, vcc
	v_cmp_gt_f32_e32 vcc, s3, v53
	s_nop 1
	v_cndmask_b32_e32 v1, v0, v53, vcc
.LBB6_20:
	s_or_b64 exec, exec, s[0:1]
	v_lshl_add_u64 v[36:37], v[42:43], 0, s[14:15]
	v_mul_f32_e32 v14, v1, v14
	global_load_dword v0, v[36:37], off
	s_mul_i32 s4, s21, s2
	s_mov_b32 s2, 0x3fb8aa3b
	v_mul_f32_e32 v15, v1, v15
	v_mul_f32_e32 v36, 0x3fb8aa3b, v14
	;; [unrolled: 1-line block ×4, first 2 shown]
	v_fma_f32 v44, v14, s2, -v36
	v_rndne_f32_e32 v45, v36
	v_mul_f32_e32 v17, v1, v17
	v_mul_f32_e32 v38, 0x3fb8aa3b, v16
	v_fma_f32 v46, v15, s2, -v37
	v_rndne_f32_e32 v47, v37
	v_fmac_f32_e32 v44, 0x32a5705f, v14
	v_sub_f32_e32 v36, v36, v45
	v_mul_f32_e32 v10, v1, v10
	v_mul_f32_e32 v39, 0x3fb8aa3b, v17
	v_fma_f32 v48, v16, s2, -v38
	v_rndne_f32_e32 v49, v38
	v_fmac_f32_e32 v46, 0x32a5705f, v15
	v_sub_f32_e32 v37, v37, v47
	v_add_f32_e32 v36, v36, v44
	v_mul_f32_e32 v43, 0x3fb8aa3b, v10
	v_fma_f32 v51, v17, s2, -v39
	v_rndne_f32_e32 v52, v39
	v_cvt_i32_f32_e32 v45, v45
	v_fmac_f32_e32 v48, 0x32a5705f, v16
	v_sub_f32_e32 v38, v38, v49
	v_add_f32_e32 v37, v37, v46
	v_exp_f32_e32 v36, v36
	v_fma_f32 v53, v10, s2, -v43
	v_rndne_f32_e32 v54, v43
	v_cvt_i32_f32_e32 v47, v47
	v_fmac_f32_e32 v51, 0x32a5705f, v17
	v_sub_f32_e32 v39, v39, v52
	v_add_f32_e32 v38, v38, v48
	v_exp_f32_e32 v37, v37
	v_cvt_i32_f32_e32 v49, v49
	v_fmac_f32_e32 v53, 0x32a5705f, v10
	v_sub_f32_e32 v43, v43, v54
	v_add_f32_e32 v39, v39, v51
	v_exp_f32_e32 v38, v38
	s_mov_b32 s0, 0xc2ce8ed0
	v_cvt_i32_f32_e32 v52, v52
	v_add_f32_e32 v43, v43, v53
	v_exp_f32_e32 v39, v39
	v_cvt_i32_f32_e32 v54, v54
	v_exp_f32_e32 v43, v43
	v_ldexp_f32 v36, v36, v45
	v_cmp_ngt_f32_e32 vcc, s0, v14
	v_ldexp_f32 v37, v37, v47
	v_ldexp_f32 v38, v38, v49
	v_cndmask_b32_e32 v36, 0, v36, vcc
	v_cmp_ngt_f32_e32 vcc, s0, v15
	v_ldexp_f32 v39, v39, v52
	s_mov_b32 s1, 0x42b17218
	v_cndmask_b32_e32 v37, 0, v37, vcc
	v_cmp_ngt_f32_e32 vcc, s0, v16
	v_ldexp_f32 v43, v43, v54
	v_mov_b32_e32 v42, 0x7f800000
	v_cndmask_b32_e32 v38, 0, v38, vcc
	v_cmp_ngt_f32_e32 vcc, s0, v17
	v_mul_f32_e32 v11, v1, v11
	v_mul_f32_e32 v12, v1, v12
	v_cndmask_b32_e32 v39, 0, v39, vcc
	v_cmp_ngt_f32_e32 vcc, s0, v10
	v_mul_f32_e32 v6, v1, v6
	v_mul_f32_e32 v7, v1, v7
	v_cndmask_b32_e32 v43, 0, v43, vcc
	v_cmp_nlt_f32_e32 vcc, s1, v14
	v_mul_f32_e32 v14, 0x3fb8aa3b, v11
	v_mul_f32_e32 v8, v1, v8
	v_cndmask_b32_e32 v54, v42, v36, vcc
	v_cmp_nlt_f32_e32 vcc, s1, v15
	v_fma_f32 v15, v11, s2, -v14
	v_fmac_f32_e32 v15, 0x32a5705f, v11
	v_cndmask_b32_e32 v55, v42, v37, vcc
	v_cmp_nlt_f32_e32 vcc, s1, v16
	v_rndne_f32_e32 v16, v14
	v_sub_f32_e32 v14, v14, v16
	v_add_f32_e32 v14, v14, v15
	v_exp_f32_e32 v44, v14
	v_cvt_i32_f32_e32 v45, v16
	v_cndmask_b32_e32 v56, v42, v38, vcc
	v_cmp_nlt_f32_e32 vcc, s1, v17
	v_mul_f32_e32 v2, v1, v2
	v_mul_f32_e32 v3, v1, v3
	v_cndmask_b32_e32 v57, v42, v39, vcc
	v_cmp_nlt_f32_e32 vcc, s1, v10
	v_ldexp_f32 v10, v44, v45
	v_mul_f32_e32 v4, v1, v4
	v_cndmask_b32_e32 v58, v42, v43, vcc
	v_mul_f32_e32 v43, 0x3fb8aa3b, v12
	v_fma_f32 v44, v12, s2, -v43
	v_rndne_f32_e32 v45, v43
	v_fmac_f32_e32 v44, 0x32a5705f, v12
	v_sub_f32_e32 v43, v43, v45
	v_add_f32_e32 v43, v43, v44
	v_exp_f32_e32 v43, v43
	v_cvt_i32_f32_e32 v44, v45
	v_cmp_ngt_f32_e32 vcc, s0, v11
	s_waitcnt vmcnt(0)
	v_mul_f32_e32 v0, v1, v0
	v_mov_b32_e32 v50, 0
	v_cndmask_b32_e32 v10, 0, v10, vcc
	v_cmp_nlt_f32_e32 vcc, s1, v11
	v_mul_f32_e32 v11, v1, v13
	v_mul_f32_e32 v13, 0x3fb8aa3b, v11
	v_cndmask_b32_e32 v59, v42, v10, vcc
	v_ldexp_f32 v10, v43, v44
	v_fma_f32 v43, v11, s2, -v13
	v_rndne_f32_e32 v44, v13
	v_fmac_f32_e32 v43, 0x32a5705f, v11
	v_sub_f32_e32 v13, v13, v44
	v_add_f32_e32 v13, v13, v43
	v_exp_f32_e32 v13, v13
	v_cvt_i32_f32_e32 v43, v44
	v_cmp_ngt_f32_e32 vcc, s0, v12
	ds_read_b128 v[14:17], v50 offset:64
	ds_read_b128 v[36:39], v50 offset:80
	v_cndmask_b32_e32 v10, 0, v10, vcc
	v_cmp_nlt_f32_e32 vcc, s1, v12
	v_mul_f32_e32 v12, 0x3fb8aa3b, v6
	s_add_u32 s3, s18, s8
	v_cndmask_b32_e32 v60, v42, v10, vcc
	v_ldexp_f32 v10, v13, v43
	v_fma_f32 v13, v6, s2, -v12
	v_rndne_f32_e32 v43, v12
	v_fmac_f32_e32 v13, 0x32a5705f, v6
	v_sub_f32_e32 v12, v12, v43
	v_add_f32_e32 v12, v12, v13
	v_exp_f32_e32 v12, v12
	v_cvt_i32_f32_e32 v13, v43
	v_cmp_ngt_f32_e32 vcc, s0, v11
	s_addc_u32 s5, s19, s9
	s_add_u32 s3, s3, s4
	v_cndmask_b32_e32 v10, 0, v10, vcc
	v_cmp_nlt_f32_e32 vcc, s1, v11
	v_mul_f32_e32 v11, 0x3fb8aa3b, v7
	s_addc_u32 s4, s5, 0
	v_cndmask_b32_e32 v61, v42, v10, vcc
	v_ldexp_f32 v10, v12, v13
	v_fma_f32 v12, v7, s2, -v11
	v_rndne_f32_e32 v13, v11
	v_fmac_f32_e32 v12, 0x32a5705f, v7
	v_sub_f32_e32 v11, v11, v13
	v_add_f32_e32 v11, v11, v12
	v_exp_f32_e32 v11, v11
	v_cvt_i32_f32_e32 v12, v13
	v_cmp_ngt_f32_e32 vcc, s0, v6
	s_nop 1
	v_cndmask_b32_e32 v10, 0, v10, vcc
	v_cmp_nlt_f32_e32 vcc, s1, v6
	v_ldexp_f32 v6, v11, v12
	s_nop 0
	v_cndmask_b32_e32 v62, v42, v10, vcc
	v_mul_f32_e32 v10, 0x3fb8aa3b, v8
	v_fma_f32 v11, v8, s2, -v10
	v_rndne_f32_e32 v12, v10
	v_fmac_f32_e32 v11, 0x32a5705f, v8
	v_sub_f32_e32 v10, v10, v12
	v_add_f32_e32 v10, v10, v11
	v_exp_f32_e32 v10, v10
	v_cvt_i32_f32_e32 v11, v12
	v_cmp_ngt_f32_e32 vcc, s0, v7
	s_nop 1
	v_cndmask_b32_e32 v6, 0, v6, vcc
	v_cmp_nlt_f32_e32 vcc, s1, v7
	v_mul_f32_e32 v7, v1, v9
	v_mul_f32_e32 v9, 0x3fb8aa3b, v7
	v_cndmask_b32_e32 v63, v42, v6, vcc
	v_ldexp_f32 v6, v10, v11
	v_fma_f32 v10, v7, s2, -v9
	v_rndne_f32_e32 v11, v9
	v_fmac_f32_e32 v10, 0x32a5705f, v7
	v_sub_f32_e32 v9, v9, v11
	v_add_f32_e32 v9, v9, v10
	v_exp_f32_e32 v9, v9
	v_cvt_i32_f32_e32 v10, v11
	v_cmp_ngt_f32_e32 vcc, s0, v8
	v_mul_f32_e32 v1, v1, v5
	s_nop 0
	v_cndmask_b32_e32 v6, 0, v6, vcc
	v_cmp_nlt_f32_e32 vcc, s1, v8
	v_mul_f32_e32 v8, 0x3fb8aa3b, v2
	s_nop 0
	v_cndmask_b32_e32 v64, v42, v6, vcc
	v_ldexp_f32 v6, v9, v10
	v_fma_f32 v9, v2, s2, -v8
	v_rndne_f32_e32 v10, v8
	v_fmac_f32_e32 v9, 0x32a5705f, v2
	v_sub_f32_e32 v8, v8, v10
	v_add_f32_e32 v8, v8, v9
	v_exp_f32_e32 v8, v8
	v_cvt_i32_f32_e32 v9, v10
	v_cmp_ngt_f32_e32 vcc, s0, v7
	s_nop 1
	v_cndmask_b32_e32 v6, 0, v6, vcc
	v_cmp_nlt_f32_e32 vcc, s1, v7
	v_mul_f32_e32 v7, 0x3fb8aa3b, v3
	s_nop 0
	v_cndmask_b32_e32 v65, v42, v6, vcc
	v_ldexp_f32 v6, v8, v9
	v_fma_f32 v8, v3, s2, -v7
	v_rndne_f32_e32 v9, v7
	v_fmac_f32_e32 v8, 0x32a5705f, v3
	v_sub_f32_e32 v7, v7, v9
	v_add_f32_e32 v7, v7, v8
	v_exp_f32_e32 v43, v7
	v_cvt_i32_f32_e32 v44, v9
	v_cmp_ngt_f32_e32 vcc, s0, v2
	s_nop 1
	v_cndmask_b32_e32 v6, 0, v6, vcc
	v_cmp_nlt_f32_e32 vcc, s1, v2
	v_ldexp_f32 v2, v43, v44
	v_mul_f32_e32 v43, 0x3fb8aa3b, v4
	v_fma_f32 v44, v4, s2, -v43
	v_rndne_f32_e32 v45, v43
	v_fmac_f32_e32 v44, 0x32a5705f, v4
	v_sub_f32_e32 v43, v43, v45
	v_add_f32_e32 v43, v43, v44
	v_exp_f32_e32 v43, v43
	v_cvt_i32_f32_e32 v44, v45
	v_cndmask_b32_e32 v66, v42, v6, vcc
	v_cmp_ngt_f32_e32 vcc, s0, v3
	ds_read_b128 v[6:9], v50 offset:96
	ds_read_b128 v[10:13], v50 offset:112
	v_cndmask_b32_e32 v2, 0, v2, vcc
	v_cmp_nlt_f32_e32 vcc, s1, v3
	v_mul_f32_e32 v3, 0x3fb8aa3b, v1
	v_fma_f32 v5, v1, s2, -v3
	v_cndmask_b32_e32 v67, v42, v2, vcc
	v_ldexp_f32 v2, v43, v44
	v_rndne_f32_e32 v43, v3
	v_fmac_f32_e32 v5, 0x32a5705f, v1
	v_sub_f32_e32 v3, v3, v43
	v_add_f32_e32 v3, v3, v5
	v_exp_f32_e32 v3, v3
	v_cvt_i32_f32_e32 v5, v43
	v_cmp_ngt_f32_e32 vcc, s0, v4
	s_nop 1
	v_cndmask_b32_e32 v2, 0, v2, vcc
	v_cmp_nlt_f32_e32 vcc, s1, v4
	s_nop 1
	v_cndmask_b32_e32 v68, v42, v2, vcc
	v_ldexp_f32 v2, v3, v5
	v_cmp_ngt_f32_e32 vcc, s0, v1
	s_nop 1
	v_cndmask_b32_e32 v2, 0, v2, vcc
	v_cmp_nlt_f32_e32 vcc, s1, v1
	s_ashr_i64 s[0:1], s[6:7], 28
	v_lshl_add_u64 v[30:31], v[30:31], 0, s[0:1]
	v_cndmask_b32_e32 v69, v42, v2, vcc
	ds_read_b128 v[2:5], v50
	ds_read_b128 v[42:45], v50 offset:16
	ds_read_b128 v[46:49], v50 offset:32
	;; [unrolled: 1-line block ×3, first 2 shown]
	s_add_u32 s0, s3, s36
	s_addc_u32 s1, s4, s33
	v_lshl_add_u64 v[34:35], v[34:35], 2, s[0:1]
	s_waitcnt lgkmcnt(3)
	v_pk_mul_f32 v[2:3], v[0:1], v[2:3] op_sel_hi:[0,1]
	v_pk_fma_f32 v[2:3], v[40:41], v[54:55], v[2:3]
	v_pk_mul_f32 v[4:5], v[0:1], v[4:5] op_sel_hi:[0,1]
	v_fma_f32 v40, v14, v2, 0
	v_fmac_f32_e32 v40, v15, v3
	v_pk_fma_f32 v[4:5], v[32:33], v[56:57], v[4:5]
	s_waitcnt lgkmcnt(2)
	v_pk_mul_f32 v[14:15], v[0:1], v[42:43] op_sel_hi:[0,1]
	v_fmac_f32_e32 v40, v16, v4
	v_fmac_f32_e32 v40, v17, v5
	v_pk_fma_f32 v[14:15], v[26:27], v[58:59], v[14:15]
	v_pk_mul_f32 v[16:17], v[0:1], v[44:45] op_sel_hi:[0,1]
	v_fmac_f32_e32 v40, v36, v14
	v_fmac_f32_e32 v40, v37, v15
	v_pk_fma_f32 v[16:17], v[28:29], v[60:61], v[16:17]
	s_waitcnt lgkmcnt(1)
	v_pk_mul_f32 v[26:27], v[0:1], v[46:47] op_sel_hi:[0,1]
	v_fmac_f32_e32 v40, v38, v16
	v_fmac_f32_e32 v40, v39, v17
	v_pk_fma_f32 v[22:23], v[22:23], v[62:63], v[26:27]
	s_nop 0
	v_fmac_f32_e32 v40, v6, v22
	v_fmac_f32_e32 v40, v7, v23
	v_pk_mul_f32 v[6:7], v[0:1], v[48:49] op_sel_hi:[0,1]
	v_pk_fma_f32 v[24:25], v[24:25], v[64:65], v[6:7]
	s_waitcnt lgkmcnt(0)
	v_pk_mul_f32 v[6:7], v[0:1], v[50:51] op_sel_hi:[0,1]
	v_fmac_f32_e32 v40, v8, v24
	v_fmac_f32_e32 v40, v9, v25
	v_pk_fma_f32 v[6:7], v[18:19], v[66:67], v[6:7]
	v_pk_mul_f32 v[0:1], v[0:1], v[52:53] op_sel_hi:[0,1]
	v_fmac_f32_e32 v40, v10, v6
	v_fmac_f32_e32 v40, v11, v7
	v_pk_fma_f32 v[8:9], v[20:21], v[68:69], v[0:1]
	s_nop 0
	v_fmac_f32_e32 v40, v12, v8
	v_fmac_f32_e32 v40, v13, v9
	global_store_dword v[30:31], v40, off
	s_barrier
	global_store_dwordx4 v[34:35], v[2:5], off
	global_store_dwordx4 v[34:35], v[14:17], off offset:16
	global_store_dwordx4 v[34:35], v[22:25], off offset:32
	;; [unrolled: 1-line block ×3, first 2 shown]
	s_endpgm
	.section	.rodata,"a",@progbits
	.p2align	6, 0x0
	.amdhsa_kernel _Z12ssm_scan_f32ILm128ELm16ELm5EEvPKfS1_S1_S1_S1_S1_PKiPfiiiiiiiiiiilll
		.amdhsa_group_segment_fixed_size 128
		.amdhsa_private_segment_fixed_size 0
		.amdhsa_kernarg_size 136
		.amdhsa_user_sgpr_count 2
		.amdhsa_user_sgpr_dispatch_ptr 0
		.amdhsa_user_sgpr_queue_ptr 0
		.amdhsa_user_sgpr_kernarg_segment_ptr 1
		.amdhsa_user_sgpr_dispatch_id 0
		.amdhsa_user_sgpr_kernarg_preload_length 0
		.amdhsa_user_sgpr_kernarg_preload_offset 0
		.amdhsa_user_sgpr_private_segment_size 0
		.amdhsa_uses_dynamic_stack 0
		.amdhsa_enable_private_segment 0
		.amdhsa_system_sgpr_workgroup_id_x 1
		.amdhsa_system_sgpr_workgroup_id_y 1
		.amdhsa_system_sgpr_workgroup_id_z 0
		.amdhsa_system_sgpr_workgroup_info 0
		.amdhsa_system_vgpr_workitem_id 0
		.amdhsa_next_free_vgpr 94
		.amdhsa_next_free_sgpr 37
		.amdhsa_accum_offset 96
		.amdhsa_reserve_vcc 1
		.amdhsa_float_round_mode_32 0
		.amdhsa_float_round_mode_16_64 0
		.amdhsa_float_denorm_mode_32 3
		.amdhsa_float_denorm_mode_16_64 3
		.amdhsa_dx10_clamp 1
		.amdhsa_ieee_mode 1
		.amdhsa_fp16_overflow 0
		.amdhsa_tg_split 0
		.amdhsa_exception_fp_ieee_invalid_op 0
		.amdhsa_exception_fp_denorm_src 0
		.amdhsa_exception_fp_ieee_div_zero 0
		.amdhsa_exception_fp_ieee_overflow 0
		.amdhsa_exception_fp_ieee_underflow 0
		.amdhsa_exception_fp_ieee_inexact 0
		.amdhsa_exception_int_div_zero 0
	.end_amdhsa_kernel
	.section	.text._Z12ssm_scan_f32ILm128ELm16ELm5EEvPKfS1_S1_S1_S1_S1_PKiPfiiiiiiiiiiilll,"axG",@progbits,_Z12ssm_scan_f32ILm128ELm16ELm5EEvPKfS1_S1_S1_S1_S1_PKiPfiiiiiiiiiiilll,comdat
.Lfunc_end6:
	.size	_Z12ssm_scan_f32ILm128ELm16ELm5EEvPKfS1_S1_S1_S1_S1_PKiPfiiiiiiiiiiilll, .Lfunc_end6-_Z12ssm_scan_f32ILm128ELm16ELm5EEvPKfS1_S1_S1_S1_S1_PKiPfiiiiiiiiiiilll
                                        ; -- End function
	.set _Z12ssm_scan_f32ILm128ELm16ELm5EEvPKfS1_S1_S1_S1_S1_PKiPfiiiiiiiiiiilll.num_vgpr, 94
	.set _Z12ssm_scan_f32ILm128ELm16ELm5EEvPKfS1_S1_S1_S1_S1_PKiPfiiiiiiiiiiilll.num_agpr, 0
	.set _Z12ssm_scan_f32ILm128ELm16ELm5EEvPKfS1_S1_S1_S1_S1_PKiPfiiiiiiiiiiilll.numbered_sgpr, 37
	.set _Z12ssm_scan_f32ILm128ELm16ELm5EEvPKfS1_S1_S1_S1_S1_PKiPfiiiiiiiiiiilll.num_named_barrier, 0
	.set _Z12ssm_scan_f32ILm128ELm16ELm5EEvPKfS1_S1_S1_S1_S1_PKiPfiiiiiiiiiiilll.private_seg_size, 0
	.set _Z12ssm_scan_f32ILm128ELm16ELm5EEvPKfS1_S1_S1_S1_S1_PKiPfiiiiiiiiiiilll.uses_vcc, 1
	.set _Z12ssm_scan_f32ILm128ELm16ELm5EEvPKfS1_S1_S1_S1_S1_PKiPfiiiiiiiiiiilll.uses_flat_scratch, 0
	.set _Z12ssm_scan_f32ILm128ELm16ELm5EEvPKfS1_S1_S1_S1_S1_PKiPfiiiiiiiiiiilll.has_dyn_sized_stack, 0
	.set _Z12ssm_scan_f32ILm128ELm16ELm5EEvPKfS1_S1_S1_S1_S1_PKiPfiiiiiiiiiiilll.has_recursion, 0
	.set _Z12ssm_scan_f32ILm128ELm16ELm5EEvPKfS1_S1_S1_S1_S1_PKiPfiiiiiiiiiiilll.has_indirect_call, 0
	.section	.AMDGPU.csdata,"",@progbits
; Kernel info:
; codeLenInByte = 14024
; TotalNumSgprs: 43
; NumVgprs: 94
; NumAgprs: 0
; TotalNumVgprs: 94
; ScratchSize: 0
; MemoryBound: 0
; FloatMode: 240
; IeeeMode: 1
; LDSByteSize: 128 bytes/workgroup (compile time only)
; SGPRBlocks: 5
; VGPRBlocks: 11
; NumSGPRsForWavesPerEU: 43
; NumVGPRsForWavesPerEU: 94
; AccumOffset: 96
; Occupancy: 5
; WaveLimiterHint : 1
; COMPUTE_PGM_RSRC2:SCRATCH_EN: 0
; COMPUTE_PGM_RSRC2:USER_SGPR: 2
; COMPUTE_PGM_RSRC2:TRAP_HANDLER: 0
; COMPUTE_PGM_RSRC2:TGID_X_EN: 1
; COMPUTE_PGM_RSRC2:TGID_Y_EN: 1
; COMPUTE_PGM_RSRC2:TGID_Z_EN: 0
; COMPUTE_PGM_RSRC2:TIDIG_COMP_CNT: 0
; COMPUTE_PGM_RSRC3_GFX90A:ACCUM_OFFSET: 23
; COMPUTE_PGM_RSRC3_GFX90A:TG_SPLIT: 0
	.section	.text._Z12ssm_scan_f32ILm128ELm16ELm6EEvPKfS1_S1_S1_S1_S1_PKiPfiiiiiiiiiiilll,"axG",@progbits,_Z12ssm_scan_f32ILm128ELm16ELm6EEvPKfS1_S1_S1_S1_S1_PKiPfiiiiiiiiiiilll,comdat
	.protected	_Z12ssm_scan_f32ILm128ELm16ELm6EEvPKfS1_S1_S1_S1_S1_PKiPfiiiiiiiiiiilll ; -- Begin function _Z12ssm_scan_f32ILm128ELm16ELm6EEvPKfS1_S1_S1_S1_S1_PKiPfiiiiiiiiiiilll
	.globl	_Z12ssm_scan_f32ILm128ELm16ELm6EEvPKfS1_S1_S1_S1_S1_PKiPfiiiiiiiiiiilll
	.p2align	8
	.type	_Z12ssm_scan_f32ILm128ELm16ELm6EEvPKfS1_S1_S1_S1_S1_PKiPfiiiiiiiiiiilll,@function
_Z12ssm_scan_f32ILm128ELm16ELm6EEvPKfS1_S1_S1_S1_S1_PKiPfiiiiiiiiiiilll: ; @_Z12ssm_scan_f32ILm128ELm16ELm6EEvPKfS1_S1_S1_S1_S1_PKiPfiiiiiiiiiiilll
; %bb.0:
	s_load_dwordx16 s[4:19], s[0:1], 0x0
	s_load_dwordx8 s[20:27], s[0:1], 0x40
	s_mov_b32 s34, s3
	s_mov_b32 s3, 0
	s_lshl_b64 s[28:29], s[2:3], 2
	s_waitcnt lgkmcnt(0)
	s_add_u32 s16, s16, s28
	s_addc_u32 s17, s17, s29
	s_load_dword s16, s[16:17], 0x0
	v_mov_b32_e32 v35, 0
	s_mov_b32 s35, s3
	v_cmp_gt_u32_e32 vcc, 16, v0
	v_mov_b32_e32 v1, v35
	s_waitcnt lgkmcnt(0)
	s_mul_i32 s16, s16, s21
	s_ashr_i32 s17, s16, 31
	s_add_u32 s4, s4, s16
	s_addc_u32 s5, s5, s17
	s_lshl_b32 s16, s34, 7
	s_ashr_i32 s17, s20, 31
	s_mul_i32 s17, s16, s17
	s_mul_hi_u32 s28, s16, s20
	s_add_i32 s17, s28, s17
	s_lshr_b32 s28, s34, 25
	s_mul_i32 s29, s28, s20
	s_add_i32 s33, s17, s29
	s_mul_i32 s36, s16, s20
	s_add_u32 s4, s4, s36
	s_addc_u32 s5, s5, s33
	s_ashr_i32 s17, s26, 31
	s_mul_i32 s17, s16, s17
	s_mul_hi_u32 s29, s16, s26
	s_add_i32 s17, s29, s17
	s_mul_i32 s28, s28, s26
	s_add_i32 s17, s17, s28
	s_mul_i32 s16, s16, s26
	s_add_u32 s10, s10, s16
	s_addc_u32 s11, s11, s17
	s_ashr_i32 s17, s26, 2
	s_ashr_i32 s16, s20, 2
	v_mul_lo_u32 v34, s17, v0
	v_lshl_add_u64 v[36:37], v[34:35], 2, s[10:11]
	v_mul_lo_u32 v34, s16, v0
	v_lshl_add_u64 v[38:39], v[34:35], 2, s[4:5]
	global_load_dwordx4 v[2:5], v[36:37], off offset:48
	global_load_dwordx4 v[6:9], v[36:37], off offset:32
	;; [unrolled: 1-line block ×3, first 2 shown]
	global_load_dwordx4 v[14:17], v[36:37], off
	global_load_dwordx4 v[18:21], v[38:39], off offset:48
	global_load_dwordx4 v[22:25], v[38:39], off offset:32
	;; [unrolled: 1-line block ×3, first 2 shown]
	global_load_dwordx4 v[30:33], v[38:39], off
	s_load_dwordx4 s[28:31], s[0:1], 0x60
	v_lshlrev_b32_e32 v0, 2, v0
	v_add_u32_e32 v65, 64, v0
	s_waitcnt lgkmcnt(0)
	s_mul_i32 s3, s28, s2
	s_add_u32 s4, s12, s3
	s_mul_i32 s10, s30, s2
	s_addc_u32 s5, s13, 0
	s_add_u32 s10, s14, s10
	s_addc_u32 s11, s15, 0
	v_lshl_add_u64 v[38:39], s[4:5], 0, v[0:1]
	v_lshl_add_u64 v[36:37], s[10:11], 0, v[0:1]
	s_and_saveexec_b64 s[4:5], vcc
	s_cbranch_execz .LBB7_2
; %bb.1:
	global_load_dword v40, v[38:39], off
	global_load_dword v41, v[36:37], off
	s_waitcnt vmcnt(1)
	ds_write_b32 v0, v40
	s_waitcnt vmcnt(0)
	ds_write_b32 v65, v41
.LBB7_2:
	s_or_b64 exec, exec, s[4:5]
	s_lshl_b64 s[12:13], s[34:35], 9
	s_mul_i32 s3, s25, s2
	s_add_u32 s3, s8, s3
	s_addc_u32 s4, s9, 0
	s_add_u32 s14, s3, s12
	s_addc_u32 s15, s4, s13
	s_waitcnt lgkmcnt(0)
	s_barrier
	global_load_dword v53, v0, s[14:15]
	s_mov_b32 s3, 0x41a00000
	s_waitcnt vmcnt(0)
	v_cmp_ge_f32_e64 s[4:5], s3, v53
	s_and_saveexec_b64 s[8:9], s[4:5]
	s_cbranch_execz .LBB7_4
; %bb.3:
	v_mul_f32_e32 v40, 0x3fb8aa3b, v53
	s_mov_b32 s3, 0x3fb8aa3b
	v_rndne_f32_e32 v41, v40
	v_sub_f32_e32 v42, v40, v41
	v_fma_f32 v40, v53, s3, -v40
	v_fmamk_f32 v40, v53, 0x32a5705f, v40
	v_add_f32_e32 v40, v42, v40
	v_exp_f32_e32 v40, v40
	v_cvt_i32_f32_e32 v41, v41
	s_mov_b32 s3, 0xc2ce8ed0
	v_cmp_ngt_f32_e64 s[4:5], s3, v53
	s_mov_b32 s3, 0x42b17218
	v_ldexp_f32 v40, v40, v41
	v_cndmask_b32_e64 v40, 0, v40, s[4:5]
	v_mov_b32_e32 v54, 0x7f800000
	v_cmp_nlt_f32_e64 s[4:5], s3, v53
	s_mov_b32 s3, 0x3f2aaaab
	s_mov_b32 s10, 0x7f800000
	v_cndmask_b32_e64 v55, v54, v40, s[4:5]
	v_add_f32_e32 v42, 1.0, v55
	v_add_f32_e32 v40, -1.0, v42
	v_sub_f32_e32 v41, v40, v42
	v_add_f32_e32 v41, 1.0, v41
	v_sub_f32_e32 v40, v55, v40
	v_add_f32_e32 v43, v40, v41
	v_frexp_mant_f32_e32 v44, v42
	v_cvt_f64_f32_e32 v[40:41], v42
	v_frexp_exp_i32_f64_e32 v40, v[40:41]
	v_cmp_gt_f32_e64 s[4:5], s3, v44
	s_mov_b32 s3, 0x3f317218
	s_nop 0
	v_subbrev_co_u32_e64 v48, s[4:5], 0, v40, s[4:5]
	v_sub_u32_e32 v40, 0, v48
	v_ldexp_f32 v41, v42, v40
	v_add_f32_e32 v42, -1.0, v41
	v_add_f32_e32 v44, 1.0, v41
	v_ldexp_f32 v40, v43, v40
	v_add_f32_e32 v43, 1.0, v42
	v_add_f32_e32 v45, -1.0, v44
	v_sub_f32_e32 v43, v41, v43
	v_sub_f32_e32 v41, v41, v45
	v_add_f32_e32 v43, v40, v43
	v_add_f32_e32 v40, v40, v41
	;; [unrolled: 1-line block ×3, first 2 shown]
	v_rcp_f32_e32 v51, v49
	v_sub_f32_e32 v41, v44, v49
	v_add_f32_e32 v50, v40, v41
	v_add_f32_e32 v41, v42, v43
	v_mul_f32_e32 v53, v41, v51
	v_sub_f32_e32 v40, v42, v41
	v_mul_f32_e32 v42, v49, v53
	v_fma_f32 v44, v53, v49, -v42
	v_fmac_f32_e32 v44, v53, v50
	v_add_f32_e32 v52, v43, v40
	v_add_f32_e32 v40, v42, v44
	v_sub_f32_e32 v43, v41, v40
	v_pk_add_f32 v[46:47], v[40:41], v[42:43] neg_lo:[0,1] neg_hi:[0,1]
	v_mov_b32_e32 v45, v40
	v_pk_add_f32 v[40:41], v[46:47], v[44:45] neg_lo:[0,1] neg_hi:[0,1]
	v_cmp_neq_f32_e64 s[4:5], s10, v55
	v_add_f32_e32 v41, v52, v41
	v_add_f32_e32 v40, v40, v41
	v_add_f32_e32 v41, v43, v40
	v_mul_f32_e32 v52, v51, v41
	v_mul_f32_e32 v42, v49, v52
	v_fma_f32 v44, v52, v49, -v42
	v_fmac_f32_e32 v44, v52, v50
	v_sub_f32_e32 v43, v43, v41
	v_add_f32_e32 v49, v40, v43
	v_add_f32_e32 v40, v42, v44
	v_sub_f32_e32 v43, v41, v40
	v_pk_add_f32 v[46:47], v[40:41], v[42:43] neg_lo:[0,1] neg_hi:[0,1]
	v_mov_b32_e32 v45, v40
	v_pk_add_f32 v[40:41], v[46:47], v[44:45] neg_lo:[0,1] neg_hi:[0,1]
	v_cvt_f32_i32_e32 v42, v48
	v_add_f32_e32 v41, v49, v41
	v_add_f32_e32 v40, v40, v41
	;; [unrolled: 1-line block ×4, first 2 shown]
	v_sub_f32_e32 v41, v43, v53
	v_mul_f32_e32 v40, v51, v40
	v_sub_f32_e32 v41, v52, v41
	v_add_f32_e32 v40, v41, v40
	v_add_f32_e32 v44, v43, v40
	v_mul_f32_e32 v46, v44, v44
	v_mov_b32_e32 v41, 0x3ecc95a3
	v_sub_f32_e32 v43, v44, v43
	v_fmac_f32_e32 v41, 0x3e9b6dac, v46
	v_sub_f32_e32 v40, v40, v43
	v_fmaak_f32 v41, v46, v41, 0x3f2aaada
	v_ldexp_f32 v47, v40, 1
	v_mul_f32_e32 v43, v44, v46
	v_mov_b32_e32 v40, 0x3f317218
	v_pk_mul_f32 v[40:41], v[42:43], v[40:41]
	v_ldexp_f32 v45, v44, 1
	v_fma_f32 v43, v42, s3, -v40
	v_fmamk_f32 v44, v42, 0xb102e308, v43
	v_pk_add_f32 v[42:43], v[40:41], v[44:45]
	v_mov_b32_e32 v46, v40
	v_sub_f32_e32 v45, v43, v45
	v_sub_f32_e32 v45, v41, v45
	v_add_f32_e32 v47, v47, v45
	v_pk_add_f32 v[40:41], v[42:43], v[40:41] neg_lo:[0,1] neg_hi:[0,1]
	v_pk_add_f32 v[48:49], v[42:43], v[46:47]
	v_mov_b32_e32 v45, v42
	v_mov_b32_e32 v41, v49
	v_pk_add_f32 v[50:51], v[44:45], v[40:41] neg_lo:[0,1] neg_hi:[0,1]
	v_pk_add_f32 v[40:41], v[44:45], v[40:41]
	v_mov_b32_e32 v46, v47
	v_pk_add_f32 v[44:45], v[40:41], v[42:43] op_sel:[1,0] op_sel_hi:[0,1] neg_lo:[0,1] neg_hi:[0,1]
	v_pk_add_f32 v[52:53], v[48:49], v[44:45] op_sel_hi:[1,0] neg_lo:[0,1] neg_hi:[0,1]
	v_mov_b32_e32 v48, v49
	v_mov_b32_e32 v49, v41
	v_pk_mov_b32 v[44:45], v[42:43], v[44:45] op_sel:[1,0]
	v_mov_b32_e32 v47, v42
	v_pk_add_f32 v[44:45], v[48:49], v[44:45] neg_lo:[0,1] neg_hi:[0,1]
	v_mov_b32_e32 v52, v50
	v_pk_add_f32 v[42:43], v[46:47], v[44:45] neg_lo:[0,1] neg_hi:[0,1]
	v_mov_b32_e32 v51, v41
	v_pk_add_f32 v[44:45], v[52:53], v[42:43]
	s_mov_b32 s3, 0x33800000
	v_pk_add_f32 v[46:47], v[44:45], v[44:45] op_sel:[0,1] op_sel_hi:[1,0]
	s_nop 0
	v_pk_add_f32 v[40:41], v[40:41], v[46:47] op_sel:[1,0] op_sel_hi:[0,1]
	v_mov_b32_e32 v45, v40
	v_pk_add_f32 v[48:49], v[44:45], v[50:51] neg_lo:[0,1] neg_hi:[0,1]
	v_mov_b32_e32 v43, v46
	v_sub_f32_e32 v41, v44, v48
	v_pk_add_f32 v[42:43], v[42:43], v[48:49] neg_lo:[0,1] neg_hi:[0,1]
	v_sub_f32_e32 v41, v50, v41
	v_add_f32_e32 v41, v42, v41
	v_add_f32_e32 v41, v41, v43
	;; [unrolled: 1-line block ×3, first 2 shown]
	v_cndmask_b32_e64 v40, v54, v40, s[4:5]
	v_cmp_gt_f32_e64 s[4:5], s3, v55
	s_nop 1
	v_cndmask_b32_e64 v53, v40, v55, s[4:5]
.LBB7_4:
	s_or_b64 exec, exec, s[8:9]
	s_load_dwordx4 s[8:11], s[0:1], 0x70
	s_mul_i32 s0, s23, s2
	v_mul_f32_e32 v50, v53, v14
	v_lshl_add_u64 v[44:45], s[14:15], 0, v[0:1]
	s_mov_b32 s15, 0x3fb8aa3b
	s_waitcnt lgkmcnt(0)
	s_mul_i32 s1, s2, s11
	s_mul_hi_u32 s3, s2, s10
	s_mul_i32 s4, s2, s10
	s_add_i32 s1, s3, s1
	s_mul_hi_u32 s3, s4, 24
	s_mul_i32 s1, s1, 24
	s_add_i32 s3, s3, s1
	s_mul_i32 s4, s4, 24
	s_add_u32 s5, s18, s4
	s_addc_u32 s20, s19, s3
	s_ashr_i32 s4, s27, 2
	s_add_u32 s0, s6, s0
	s_addc_u32 s1, s7, 0
	s_add_u32 s16, s0, s12
	s_addc_u32 s17, s1, s13
	global_load_dword v52, v0, s[16:17]
	v_mul_f32_e32 v51, v53, v15
	v_mul_f32_e32 v66, 0x3fb8aa3b, v50
	;; [unrolled: 1-line block ×4, first 2 shown]
	v_fma_f32 v72, v50, s15, -v66
	v_rndne_f32_e32 v73, v66
	v_mul_f32_e32 v64, v53, v17
	v_mul_f32_e32 v69, 0x3fb8aa3b, v55
	v_fma_f32 v74, v51, s15, -v67
	v_rndne_f32_e32 v75, v67
	v_fmac_f32_e32 v72, 0x32a5705f, v50
	v_sub_f32_e32 v66, v66, v73
	v_mul_f32_e32 v70, 0x3fb8aa3b, v64
	v_fma_f32 v76, v55, s15, -v69
	v_rndne_f32_e32 v77, v69
	v_fmac_f32_e32 v74, 0x32a5705f, v51
	v_sub_f32_e32 v67, v67, v75
	v_add_f32_e32 v66, v66, v72
	v_fma_f32 v78, v64, s15, -v70
	v_rndne_f32_e32 v79, v70
	v_fmac_f32_e32 v76, 0x32a5705f, v55
	v_sub_f32_e32 v69, v69, v77
	v_cvt_i32_f32_e32 v73, v73
	v_add_f32_e32 v67, v67, v74
	v_exp_f32_e32 v66, v66
	v_fmac_f32_e32 v78, 0x32a5705f, v64
	v_sub_f32_e32 v70, v70, v79
	v_cvt_i32_f32_e32 v75, v75
	v_add_f32_e32 v69, v69, v76
	v_exp_f32_e32 v67, v67
	v_cvt_i32_f32_e32 v77, v77
	v_add_f32_e32 v70, v70, v78
	v_exp_f32_e32 v69, v69
	s_mov_b32 s3, 0xc2ce8ed0
	v_cvt_i32_f32_e32 v79, v79
	v_exp_f32_e32 v70, v70
	v_ldexp_f32 v66, v66, v73
	v_cmp_ngt_f32_e64 s[0:1], s3, v50
	v_ldexp_f32 v67, v67, v75
	v_mov_b32_e32 v1, 0
	v_cndmask_b32_e64 v66, 0, v66, s[0:1]
	v_cmp_ngt_f32_e64 s[0:1], s3, v51
	v_ldexp_f32 v69, v69, v77
	s_mov_b32 s14, 0x42b17218
	v_cndmask_b32_e64 v67, 0, v67, s[0:1]
	v_cmp_ngt_f32_e64 s[0:1], s3, v55
	ds_read_b128 v[40:43], v1
	ds_read_b128 v[46:49], v1 offset:16
	v_ldexp_f32 v70, v70, v79
	v_cndmask_b32_e64 v69, 0, v69, s[0:1]
	v_cmp_ngt_f32_e64 s[0:1], s3, v64
	v_mov_b32_e32 v54, 0x7f800000
	v_mul_f32_e32 v68, v53, v10
	v_cndmask_b32_e64 v70, 0, v70, s[0:1]
	v_cmp_nlt_f32_e64 s[0:1], s14, v50
	v_mul_f32_e32 v71, 0x3fb8aa3b, v68
	v_fma_f32 v80, v68, s15, -v71
	v_cndmask_b32_e64 v50, v54, v66, s[0:1]
	v_cmp_nlt_f32_e64 s[0:1], s14, v51
	v_rndne_f32_e32 v81, v71
	v_fmac_f32_e32 v80, 0x32a5705f, v68
	v_cndmask_b32_e64 v51, v54, v67, s[0:1]
	v_cmp_nlt_f32_e64 s[0:1], s14, v55
	v_sub_f32_e32 v71, v71, v81
	v_add_f32_e32 v71, v71, v80
	v_cndmask_b32_e64 v66, v54, v69, s[0:1]
	v_cmp_nlt_f32_e64 s[0:1], s14, v64
	v_cvt_i32_f32_e32 v81, v81
	v_exp_f32_e32 v71, v71
	v_cndmask_b32_e64 v67, v54, v70, s[0:1]
	v_cmp_ngt_f32_e64 s[0:1], s3, v68
	ds_read_b128 v[56:59], v1 offset:64
	ds_read_b128 v[60:63], v1 offset:80
	v_mul_f32_e32 v55, v53, v12
	s_add_u32 s12, s5, s12
	s_addc_u32 s13, s20, s13
	s_ashr_i32 s6, s29, 2
	s_ashr_i32 s5, s4, 31
	;; [unrolled: 1-line block ×3, first 2 shown]
	s_waitcnt vmcnt(0)
	v_mul_f32_e32 v52, v53, v52
	s_waitcnt lgkmcnt(3)
	v_pk_mul_f32 v[40:41], v[52:53], v[40:41] op_sel_hi:[0,1]
	v_pk_mul_f32 v[42:43], v[52:53], v[42:43] op_sel_hi:[0,1]
	v_pk_fma_f32 v[40:41], v[30:31], v[50:51], v[40:41]
	v_mul_f32_e32 v31, v53, v11
	v_pk_fma_f32 v[42:43], v[32:33], v[66:67], v[42:43]
	v_mul_f32_e32 v32, 0x3fb8aa3b, v31
	v_fma_f32 v33, v31, s15, -v32
	v_rndne_f32_e32 v51, v32
	v_fmac_f32_e32 v33, 0x32a5705f, v31
	v_sub_f32_e32 v32, v32, v51
	v_add_f32_e32 v32, v32, v33
	v_exp_f32_e32 v32, v32
	v_cvt_i32_f32_e32 v33, v51
	v_ldexp_f32 v30, v71, v81
	v_cndmask_b32_e64 v30, 0, v30, s[0:1]
	v_cmp_nlt_f32_e64 s[0:1], s14, v68
	v_ldexp_f32 v32, v32, v33
	s_waitcnt lgkmcnt(1)
	v_fma_f32 v50, v56, v40, 0
	v_cndmask_b32_e64 v30, v54, v30, s[0:1]
	v_cmp_ngt_f32_e64 s[0:1], s3, v31
	v_fmac_f32_e32 v50, v57, v41
	v_mul_f32_e32 v57, v53, v13
	v_cndmask_b32_e64 v32, 0, v32, s[0:1]
	v_cmp_nlt_f32_e64 s[0:1], s14, v31
	v_fmac_f32_e32 v50, v58, v42
	v_fmac_f32_e32 v50, v59, v43
	v_cndmask_b32_e64 v31, v54, v32, s[0:1]
	v_pk_mul_f32 v[32:33], v[52:53], v[46:47] op_sel_hi:[0,1]
	v_pk_fma_f32 v[26:27], v[26:27], v[30:31], v[32:33]
	v_mul_f32_e32 v32, 0x3fb8aa3b, v55
	v_fma_f32 v33, v55, s15, -v32
	v_rndne_f32_e32 v46, v32
	v_fmac_f32_e32 v33, 0x32a5705f, v55
	v_sub_f32_e32 v32, v32, v46
	v_add_f32_e32 v32, v32, v33
	v_cvt_i32_f32_e32 v33, v46
	v_mul_f32_e32 v46, 0x3fb8aa3b, v57
	v_fma_f32 v47, v57, s15, -v46
	v_rndne_f32_e32 v51, v46
	v_fmac_f32_e32 v47, 0x32a5705f, v57
	v_sub_f32_e32 v46, v46, v51
	v_add_f32_e32 v46, v46, v47
	v_exp_f32_e32 v46, v46
	v_cvt_i32_f32_e32 v47, v51
	v_exp_f32_e32 v32, v32
	s_waitcnt lgkmcnt(0)
	v_pk_mul_f32 v[30:31], v[60:61], v[26:27]
	v_cmp_ngt_f32_e64 s[0:1], s3, v57
	v_add_f32_e32 v30, v50, v30
	v_add_f32_e32 v58, v30, v31
	v_ldexp_f32 v30, v46, v47
	v_ldexp_f32 v56, v32, v33
	v_cndmask_b32_e64 v59, 0, v30, s[0:1]
	v_cmp_ngt_f32_e64 s[0:1], s3, v55
	v_pk_mul_f32 v[50:51], v[52:53], v[48:49] op_sel_hi:[0,1]
	ds_read_b128 v[46:49], v1 offset:32
	ds_read_b128 v[30:33], v1 offset:48
	v_cndmask_b32_e64 v56, 0, v56, s[0:1]
	v_cmp_nlt_f32_e64 s[0:1], s14, v55
	v_mul_f32_e32 v55, v53, v6
	s_waitcnt lgkmcnt(1)
	v_pk_mul_f32 v[46:47], v[52:53], v[46:47] op_sel_hi:[0,1]
	v_cndmask_b32_e64 v56, v54, v56, s[0:1]
	v_cmp_nlt_f32_e64 s[0:1], s14, v57
	s_nop 1
	v_cndmask_b32_e64 v57, v54, v59, s[0:1]
	v_pk_fma_f32 v[28:29], v[28:29], v[56:57], v[50:51]
	v_mul_f32_e32 v50, 0x3fb8aa3b, v55
	v_fma_f32 v51, v55, s15, -v50
	v_rndne_f32_e32 v56, v50
	v_fmac_f32_e32 v51, 0x32a5705f, v55
	v_sub_f32_e32 v50, v50, v56
	v_add_f32_e32 v50, v50, v51
	v_exp_f32_e32 v57, v50
	v_cvt_i32_f32_e32 v56, v56
	v_pk_mul_f32 v[50:51], v[62:63], v[28:29]
	v_cmp_ngt_f32_e64 s[0:1], s3, v55
	v_add_f32_e32 v50, v58, v50
	v_add_f32_e32 v64, v50, v51
	v_mul_f32_e32 v51, v53, v7
	v_ldexp_f32 v50, v57, v56
	v_mul_f32_e32 v56, 0x3fb8aa3b, v51
	v_fma_f32 v57, v51, s15, -v56
	v_rndne_f32_e32 v58, v56
	v_fmac_f32_e32 v57, 0x32a5705f, v51
	v_sub_f32_e32 v56, v56, v58
	v_add_f32_e32 v56, v56, v57
	v_exp_f32_e32 v56, v56
	v_cvt_i32_f32_e32 v57, v58
	v_cndmask_b32_e64 v50, 0, v50, s[0:1]
	v_cmp_nlt_f32_e64 s[0:1], s14, v55
	ds_read_b128 v[60:63], v1 offset:112
	v_ldexp_f32 v55, v56, v57
	v_cndmask_b32_e64 v50, v54, v50, s[0:1]
	v_cmp_ngt_f32_e64 s[0:1], s3, v51
	ds_read_b128 v[56:59], v1 offset:96
	s_nop 0
	v_cndmask_b32_e64 v55, 0, v55, s[0:1]
	v_cmp_nlt_f32_e64 s[0:1], s14, v51
	s_nop 1
	v_cndmask_b32_e64 v51, v54, v55, s[0:1]
	v_pk_fma_f32 v[46:47], v[22:23], v[50:51], v[46:47]
	v_mul_f32_e32 v50, v53, v8
	v_mul_f32_e32 v51, 0x3fb8aa3b, v50
	s_waitcnt lgkmcnt(0)
	v_pk_mul_f32 v[22:23], v[56:57], v[46:47]
	v_fma_f32 v55, v50, s15, -v51
	v_rndne_f32_e32 v56, v51
	v_fmac_f32_e32 v55, 0x32a5705f, v50
	v_sub_f32_e32 v51, v51, v56
	v_add_f32_e32 v51, v51, v55
	v_cvt_i32_f32_e32 v55, v56
	v_mul_f32_e32 v56, v53, v9
	v_mul_f32_e32 v57, 0x3fb8aa3b, v56
	v_add_f32_e32 v22, v64, v22
	v_fma_f32 v64, v56, s15, -v57
	v_rndne_f32_e32 v66, v57
	v_fmac_f32_e32 v64, 0x32a5705f, v56
	v_sub_f32_e32 v57, v57, v66
	v_add_f32_e32 v57, v57, v64
	v_exp_f32_e32 v57, v57
	v_cvt_i32_f32_e32 v64, v66
	v_exp_f32_e32 v51, v51
	v_add_f32_e32 v66, v22, v23
	v_pk_mul_f32 v[22:23], v[52:53], v[48:49] op_sel_hi:[0,1]
	v_ldexp_f32 v49, v57, v64
	v_cmp_ngt_f32_e64 s[0:1], s3, v56
	v_ldexp_f32 v48, v51, v55
	s_nop 0
	v_cndmask_b32_e64 v49, 0, v49, s[0:1]
	v_cmp_ngt_f32_e64 s[0:1], s3, v50
	s_nop 1
	v_cndmask_b32_e64 v48, 0, v48, s[0:1]
	v_cmp_nlt_f32_e64 s[0:1], s14, v50
	s_nop 1
	v_cndmask_b32_e64 v48, v54, v48, s[0:1]
	v_cmp_nlt_f32_e64 s[0:1], s14, v56
	s_nop 1
	v_cndmask_b32_e64 v49, v54, v49, s[0:1]
	v_pk_fma_f32 v[48:49], v[24:25], v[48:49], v[22:23]
	v_mul_f32_e32 v24, v53, v2
	v_mul_f32_e32 v22, 0x3fb8aa3b, v24
	v_fma_f32 v23, v24, s15, -v22
	v_rndne_f32_e32 v25, v22
	v_fmac_f32_e32 v23, 0x32a5705f, v24
	v_sub_f32_e32 v22, v22, v25
	v_add_f32_e32 v22, v22, v23
	v_exp_f32_e32 v50, v22
	v_cvt_i32_f32_e32 v25, v25
	v_pk_mul_f32 v[22:23], v[58:59], v[48:49]
	v_cmp_ngt_f32_e64 s[0:1], s3, v24
	v_add_f32_e32 v22, v66, v22
	v_add_f32_e32 v55, v22, v23
	v_mul_f32_e32 v23, v53, v3
	v_ldexp_f32 v22, v50, v25
	v_mul_f32_e32 v25, 0x3fb8aa3b, v23
	v_fma_f32 v50, v23, s15, -v25
	v_rndne_f32_e32 v51, v25
	v_fmac_f32_e32 v50, 0x32a5705f, v23
	v_sub_f32_e32 v25, v25, v51
	v_add_f32_e32 v25, v25, v50
	v_exp_f32_e32 v25, v25
	v_cvt_i32_f32_e32 v50, v51
	v_cndmask_b32_e64 v22, 0, v22, s[0:1]
	v_cmp_nlt_f32_e64 s[0:1], s14, v24
	v_ldexp_f32 v24, v25, v50
	s_nop 0
	v_cndmask_b32_e64 v22, v54, v22, s[0:1]
	v_cmp_ngt_f32_e64 s[0:1], s3, v23
	s_nop 1
	v_cndmask_b32_e64 v24, 0, v24, s[0:1]
	v_cmp_nlt_f32_e64 s[0:1], s14, v23
	s_nop 1
	v_cndmask_b32_e64 v23, v54, v24, s[0:1]
	v_pk_mul_f32 v[24:25], v[52:53], v[30:31] op_sel_hi:[0,1]
	v_pk_fma_f32 v[50:51], v[18:19], v[22:23], v[24:25]
	v_mul_f32_e32 v22, v53, v4
	v_mul_f32_e32 v18, 0x3fb8aa3b, v22
	v_fma_f32 v19, v22, s15, -v18
	v_rndne_f32_e32 v23, v18
	v_fmac_f32_e32 v19, 0x32a5705f, v22
	v_sub_f32_e32 v18, v18, v23
	v_add_f32_e32 v18, v18, v19
	v_exp_f32_e32 v24, v18
	v_cvt_i32_f32_e32 v23, v23
	v_pk_mul_f32 v[18:19], v[60:61], v[50:51]
	v_cmp_ngt_f32_e64 s[0:1], s3, v22
	v_add_f32_e32 v18, v55, v18
	v_add_f32_e32 v25, v18, v19
	v_mul_f32_e32 v19, v53, v5
	v_ldexp_f32 v18, v24, v23
	v_mul_f32_e32 v23, 0x3fb8aa3b, v19
	v_fma_f32 v24, v19, s15, -v23
	v_rndne_f32_e32 v30, v23
	v_fmac_f32_e32 v24, 0x32a5705f, v19
	v_sub_f32_e32 v23, v23, v30
	v_add_f32_e32 v23, v23, v24
	v_exp_f32_e32 v23, v23
	v_cvt_i32_f32_e32 v24, v30
	v_cndmask_b32_e64 v18, 0, v18, s[0:1]
	v_cmp_nlt_f32_e64 s[0:1], s14, v22
	v_ldexp_f32 v22, v23, v24
	s_nop 0
	v_cndmask_b32_e64 v18, v54, v18, s[0:1]
	v_cmp_ngt_f32_e64 s[0:1], s3, v19
	s_nop 1
	v_cndmask_b32_e64 v22, 0, v22, s[0:1]
	v_cmp_nlt_f32_e64 s[0:1], s14, v19
	s_nop 1
	v_cndmask_b32_e64 v19, v54, v22, s[0:1]
	v_pk_mul_f32 v[22:23], v[52:53], v[32:33] op_sel_hi:[0,1]
	v_pk_fma_f32 v[52:53], v[20:21], v[18:19], v[22:23]
	s_nop 0
	v_pk_mul_f32 v[18:19], v[62:63], v[52:53]
	s_nop 0
	v_add_f32_e32 v18, v25, v18
	v_add_f32_e32 v18, v18, v19
	global_store_dword v0, v18, s[12:13]
	s_barrier
	s_and_saveexec_b64 s[0:1], vcc
	s_cbranch_execz .LBB7_6
; %bb.5:
	v_lshl_add_u64 v[18:19], s[4:5], 2, v[38:39]
	global_load_dword v20, v[18:19], off
	v_lshl_add_u64 v[18:19], s[6:7], 2, v[36:37]
	global_load_dword v18, v[18:19], off
	s_waitcnt vmcnt(1)
	ds_write_b32 v0, v20
	s_waitcnt vmcnt(0)
	ds_write_b32 v65, v18
.LBB7_6:
	s_or_b64 exec, exec, s[0:1]
	s_ashr_i32 s14, s24, 2
	s_ashr_i32 s15, s14, 31
	v_lshl_add_u64 v[54:55], s[14:15], 2, v[44:45]
	s_waitcnt lgkmcnt(0)
	s_barrier
	global_load_dword v59, v[54:55], off
	s_mov_b32 s0, 0x41a00000
	v_lshl_add_u64 v[18:19], s[16:17], 0, v[0:1]
	v_lshl_add_u64 v[30:31], s[12:13], 0, v[0:1]
	s_waitcnt vmcnt(0)
	v_cmp_ge_f32_e64 s[0:1], s0, v59
	s_and_saveexec_b64 s[12:13], s[0:1]
	s_cbranch_execz .LBB7_8
; %bb.7:
	v_mul_f32_e32 v1, 0x3fb8aa3b, v59
	s_mov_b32 s0, 0x3fb8aa3b
	v_rndne_f32_e32 v20, v1
	v_sub_f32_e32 v21, v1, v20
	v_fma_f32 v1, v59, s0, -v1
	v_fmamk_f32 v1, v59, 0x32a5705f, v1
	v_add_f32_e32 v1, v21, v1
	v_exp_f32_e32 v1, v1
	v_cvt_i32_f32_e32 v20, v20
	s_mov_b32 s0, 0xc2ce8ed0
	v_cmp_ngt_f32_e64 s[0:1], s0, v59
	v_mov_b32_e32 v60, 0x7f800000
	v_ldexp_f32 v1, v1, v20
	v_cndmask_b32_e64 v1, 0, v1, s[0:1]
	s_mov_b32 s0, 0x42b17218
	v_cmp_nlt_f32_e64 s[0:1], s0, v59
	s_mov_b32 s3, 0x7f800000
	s_nop 0
	v_cndmask_b32_e64 v1, v60, v1, s[0:1]
	v_add_f32_e32 v22, 1.0, v1
	v_add_f32_e32 v20, -1.0, v22
	v_sub_f32_e32 v21, v20, v22
	v_add_f32_e32 v21, 1.0, v21
	v_sub_f32_e32 v20, v1, v20
	v_add_f32_e32 v23, v20, v21
	v_frexp_mant_f32_e32 v24, v22
	s_mov_b32 s0, 0x3f2aaaab
	v_cvt_f64_f32_e32 v[20:21], v22
	v_frexp_exp_i32_f64_e32 v20, v[20:21]
	v_cmp_gt_f32_e64 s[0:1], s0, v24
	s_nop 1
	v_subbrev_co_u32_e64 v44, s[0:1], 0, v20, s[0:1]
	v_sub_u32_e32 v20, 0, v44
	v_ldexp_f32 v21, v22, v20
	v_add_f32_e32 v22, -1.0, v21
	v_add_f32_e32 v24, 1.0, v21
	v_ldexp_f32 v20, v23, v20
	v_add_f32_e32 v23, 1.0, v22
	v_add_f32_e32 v25, -1.0, v24
	v_sub_f32_e32 v23, v21, v23
	v_sub_f32_e32 v21, v21, v25
	v_add_f32_e32 v23, v20, v23
	v_add_f32_e32 v20, v20, v21
	;; [unrolled: 1-line block ×3, first 2 shown]
	v_rcp_f32_e32 v57, v45
	v_sub_f32_e32 v21, v24, v45
	v_add_f32_e32 v56, v20, v21
	v_add_f32_e32 v21, v22, v23
	v_mul_f32_e32 v59, v21, v57
	v_sub_f32_e32 v20, v22, v21
	v_mul_f32_e32 v22, v45, v59
	v_fma_f32 v24, v59, v45, -v22
	v_fmac_f32_e32 v24, v59, v56
	v_add_f32_e32 v58, v23, v20
	v_add_f32_e32 v20, v22, v24
	v_sub_f32_e32 v23, v21, v20
	v_pk_add_f32 v[32:33], v[20:21], v[22:23] neg_lo:[0,1] neg_hi:[0,1]
	v_mov_b32_e32 v25, v20
	v_pk_add_f32 v[20:21], v[32:33], v[24:25] neg_lo:[0,1] neg_hi:[0,1]
	s_mov_b32 s0, 0x3f317218
	v_add_f32_e32 v21, v58, v21
	v_add_f32_e32 v20, v20, v21
	;; [unrolled: 1-line block ×3, first 2 shown]
	v_mul_f32_e32 v58, v57, v21
	v_mul_f32_e32 v22, v45, v58
	v_fma_f32 v24, v58, v45, -v22
	v_fmac_f32_e32 v24, v58, v56
	v_sub_f32_e32 v23, v23, v21
	v_add_f32_e32 v45, v20, v23
	v_add_f32_e32 v20, v22, v24
	v_sub_f32_e32 v23, v21, v20
	v_pk_add_f32 v[32:33], v[20:21], v[22:23] neg_lo:[0,1] neg_hi:[0,1]
	v_mov_b32_e32 v25, v20
	v_pk_add_f32 v[20:21], v[32:33], v[24:25] neg_lo:[0,1] neg_hi:[0,1]
	v_cvt_f32_i32_e32 v22, v44
	v_add_f32_e32 v21, v45, v21
	v_add_f32_e32 v20, v20, v21
	;; [unrolled: 1-line block ×4, first 2 shown]
	v_sub_f32_e32 v21, v23, v59
	v_mul_f32_e32 v20, v57, v20
	v_sub_f32_e32 v21, v58, v21
	v_add_f32_e32 v20, v21, v20
	v_add_f32_e32 v24, v23, v20
	v_mul_f32_e32 v32, v24, v24
	v_mov_b32_e32 v21, 0x3ecc95a3
	v_sub_f32_e32 v23, v24, v23
	v_fmac_f32_e32 v21, 0x3e9b6dac, v32
	v_sub_f32_e32 v20, v20, v23
	v_fmaak_f32 v21, v32, v21, 0x3f2aaada
	v_ldexp_f32 v33, v20, 1
	v_mul_f32_e32 v23, v24, v32
	v_mov_b32_e32 v20, 0x3f317218
	v_pk_mul_f32 v[20:21], v[22:23], v[20:21]
	v_ldexp_f32 v25, v24, 1
	v_fma_f32 v23, v22, s0, -v20
	v_fmamk_f32 v24, v22, 0xb102e308, v23
	v_pk_add_f32 v[22:23], v[20:21], v[24:25]
	v_mov_b32_e32 v32, v20
	v_sub_f32_e32 v25, v23, v25
	v_sub_f32_e32 v25, v21, v25
	v_add_f32_e32 v33, v33, v25
	v_pk_add_f32 v[20:21], v[22:23], v[20:21] neg_lo:[0,1] neg_hi:[0,1]
	v_pk_add_f32 v[44:45], v[22:23], v[32:33]
	v_mov_b32_e32 v25, v22
	v_mov_b32_e32 v21, v45
	v_pk_add_f32 v[56:57], v[24:25], v[20:21] neg_lo:[0,1] neg_hi:[0,1]
	v_pk_add_f32 v[20:21], v[24:25], v[20:21]
	v_mov_b32_e32 v32, v33
	v_pk_add_f32 v[24:25], v[20:21], v[22:23] op_sel:[1,0] op_sel_hi:[0,1] neg_lo:[0,1] neg_hi:[0,1]
	v_pk_add_f32 v[58:59], v[44:45], v[24:25] op_sel_hi:[1,0] neg_lo:[0,1] neg_hi:[0,1]
	v_mov_b32_e32 v44, v45
	v_mov_b32_e32 v45, v21
	v_pk_mov_b32 v[24:25], v[22:23], v[24:25] op_sel:[1,0]
	v_mov_b32_e32 v33, v22
	v_pk_add_f32 v[24:25], v[44:45], v[24:25] neg_lo:[0,1] neg_hi:[0,1]
	v_mov_b32_e32 v58, v56
	v_pk_add_f32 v[22:23], v[32:33], v[24:25] neg_lo:[0,1] neg_hi:[0,1]
	v_mov_b32_e32 v57, v21
	v_pk_add_f32 v[24:25], v[58:59], v[22:23]
	v_cmp_neq_f32_e64 s[0:1], s3, v1
	v_pk_add_f32 v[32:33], v[24:25], v[24:25] op_sel:[0,1] op_sel_hi:[1,0]
	s_nop 0
	v_pk_add_f32 v[20:21], v[20:21], v[32:33] op_sel:[1,0] op_sel_hi:[0,1]
	v_mov_b32_e32 v25, v20
	v_pk_add_f32 v[44:45], v[24:25], v[56:57] neg_lo:[0,1] neg_hi:[0,1]
	v_mov_b32_e32 v23, v32
	v_sub_f32_e32 v21, v24, v44
	v_pk_add_f32 v[22:23], v[22:23], v[44:45] neg_lo:[0,1] neg_hi:[0,1]
	v_sub_f32_e32 v21, v56, v21
	v_add_f32_e32 v21, v22, v21
	v_add_f32_e32 v21, v21, v23
	;; [unrolled: 1-line block ×3, first 2 shown]
	v_cndmask_b32_e64 v20, v60, v20, s[0:1]
	s_mov_b32 s0, 0x33800000
	v_cmp_gt_f32_e64 s[0:1], s0, v1
	s_nop 1
	v_cndmask_b32_e64 v59, v20, v1, s[0:1]
.LBB7_8:
	s_or_b64 exec, exec, s[12:13]
	s_ashr_i32 s22, s22, 2
	s_ashr_i32 s23, s22, 31
	v_lshl_add_u64 v[56:57], s[22:23], 2, v[18:19]
	global_load_dword v58, v[56:57], off
	v_mul_f32_e32 v32, v59, v14
	s_mov_b32 s17, 0x3fb8aa3b
	v_mul_f32_e32 v33, v59, v15
	v_mul_f32_e32 v79, 0x3fb8aa3b, v32
	;; [unrolled: 1-line block ×4, first 2 shown]
	v_fma_f32 v84, v32, s17, -v79
	v_rndne_f32_e32 v85, v79
	v_mul_f32_e32 v45, v59, v17
	v_mul_f32_e32 v81, 0x3fb8aa3b, v44
	v_fma_f32 v86, v33, s17, -v80
	v_rndne_f32_e32 v87, v80
	v_fmac_f32_e32 v84, 0x32a5705f, v32
	v_sub_f32_e32 v79, v79, v85
	v_mul_f32_e32 v82, 0x3fb8aa3b, v45
	v_fma_f32 v88, v44, s17, -v81
	v_rndne_f32_e32 v89, v81
	v_fmac_f32_e32 v86, 0x32a5705f, v33
	v_sub_f32_e32 v80, v80, v87
	v_add_f32_e32 v79, v79, v84
	v_fma_f32 v90, v45, s17, -v82
	v_rndne_f32_e32 v91, v82
	v_fmac_f32_e32 v88, 0x32a5705f, v44
	v_sub_f32_e32 v81, v81, v89
	v_cvt_i32_f32_e32 v85, v85
	v_add_f32_e32 v80, v80, v86
	v_exp_f32_e32 v79, v79
	v_fmac_f32_e32 v90, 0x32a5705f, v45
	v_sub_f32_e32 v82, v82, v91
	v_cvt_i32_f32_e32 v87, v87
	v_add_f32_e32 v81, v81, v88
	v_exp_f32_e32 v80, v80
	v_cvt_i32_f32_e32 v89, v89
	v_add_f32_e32 v82, v82, v90
	v_exp_f32_e32 v81, v81
	s_mov_b32 s3, 0xc2ce8ed0
	v_cvt_i32_f32_e32 v91, v91
	v_exp_f32_e32 v82, v82
	v_ldexp_f32 v79, v79, v85
	v_cmp_ngt_f32_e64 s[0:1], s3, v32
	v_ldexp_f32 v80, v80, v87
	v_ldexp_f32 v81, v81, v89
	v_cndmask_b32_e64 v79, 0, v79, s[0:1]
	v_cmp_ngt_f32_e64 s[0:1], s3, v33
	s_mov_b32 s16, 0x42b17218
	v_mov_b32_e32 v64, 0
	v_cndmask_b32_e64 v80, 0, v80, s[0:1]
	v_cmp_ngt_f32_e64 s[0:1], s3, v44
	v_ldexp_f32 v82, v82, v91
	v_mov_b32_e32 v1, 0x7f800000
	v_cndmask_b32_e64 v81, 0, v81, s[0:1]
	v_cmp_ngt_f32_e64 s[0:1], s3, v45
	ds_read_b128 v[60:63], v64
	ds_read_b128 v[66:69], v64 offset:16
	v_cndmask_b32_e64 v82, 0, v82, s[0:1]
	v_cmp_nlt_f32_e64 s[0:1], s16, v32
	v_mul_f32_e32 v78, v59, v10
	v_mul_f32_e32 v83, 0x3fb8aa3b, v78
	v_cndmask_b32_e64 v32, v1, v79, s[0:1]
	v_cmp_nlt_f32_e64 s[0:1], s16, v33
	v_fma_f32 v92, v78, s17, -v83
	v_rndne_f32_e32 v93, v83
	v_cndmask_b32_e64 v33, v1, v80, s[0:1]
	v_cmp_nlt_f32_e64 s[0:1], s16, v44
	v_fmac_f32_e32 v92, 0x32a5705f, v78
	v_sub_f32_e32 v83, v83, v93
	v_cndmask_b32_e64 v44, v1, v81, s[0:1]
	v_cmp_nlt_f32_e64 s[0:1], s16, v45
	v_add_f32_e32 v83, v83, v92
	v_exp_f32_e32 v83, v83
	v_cndmask_b32_e64 v45, v1, v82, s[0:1]
	v_cmp_ngt_f32_e64 s[0:1], s3, v78
	ds_read_b128 v[22:25], v64 offset:32
	ds_read_b128 v[18:21], v64 offset:48
	;; [unrolled: 1-line block ×4, first 2 shown]
	s_mov_b32 s12, 0
	s_mov_b32 s13, s10
	s_waitcnt vmcnt(0)
	v_mul_f32_e32 v58, v59, v58
	s_waitcnt lgkmcnt(5)
	v_pk_mul_f32 v[60:61], v[58:59], v[60:61] op_sel_hi:[0,1]
	v_pk_mul_f32 v[62:63], v[58:59], v[62:63] op_sel_hi:[0,1]
	v_pk_fma_f32 v[32:33], v[40:41], v[32:33], v[60:61]
	v_pk_fma_f32 v[40:41], v[42:43], v[44:45], v[62:63]
	v_mul_f32_e32 v43, v59, v11
	v_mul_f32_e32 v44, 0x3fb8aa3b, v43
	v_fma_f32 v45, v43, s17, -v44
	v_rndne_f32_e32 v61, v44
	v_cvt_i32_f32_e32 v42, v93
	v_fmac_f32_e32 v45, 0x32a5705f, v43
	v_sub_f32_e32 v44, v44, v61
	v_add_f32_e32 v44, v44, v45
	v_exp_f32_e32 v44, v44
	v_cvt_i32_f32_e32 v45, v61
	v_ldexp_f32 v42, v83, v42
	v_cndmask_b32_e64 v42, 0, v42, s[0:1]
	v_cmp_nlt_f32_e64 s[0:1], s16, v78
	v_ldexp_f32 v44, v44, v45
	s_waitcnt lgkmcnt(1)
	v_fma_f32 v60, v70, v32, 0
	v_cndmask_b32_e64 v42, v1, v42, s[0:1]
	v_cmp_ngt_f32_e64 s[0:1], s3, v43
	v_fmac_f32_e32 v60, v71, v33
	v_fmac_f32_e32 v60, v72, v40
	v_cndmask_b32_e64 v44, 0, v44, s[0:1]
	v_cmp_nlt_f32_e64 s[0:1], s16, v43
	v_fmac_f32_e32 v60, v73, v41
	v_pk_mul_f32 v[22:23], v[58:59], v[22:23] op_sel_hi:[0,1]
	v_cndmask_b32_e64 v43, v1, v44, s[0:1]
	v_pk_mul_f32 v[44:45], v[58:59], v[66:67] op_sel_hi:[0,1]
	v_pk_fma_f32 v[42:43], v[26:27], v[42:43], v[44:45]
	v_mul_f32_e32 v44, v59, v12
	v_mul_f32_e32 v26, 0x3fb8aa3b, v44
	v_fma_f32 v27, v44, s17, -v26
	v_rndne_f32_e32 v45, v26
	v_fmac_f32_e32 v27, 0x32a5705f, v44
	v_sub_f32_e32 v26, v26, v45
	v_add_f32_e32 v26, v26, v27
	v_exp_f32_e32 v61, v26
	v_cvt_i32_f32_e32 v45, v45
	s_waitcnt lgkmcnt(0)
	v_pk_mul_f32 v[26:27], v[74:75], v[42:43]
	v_cmp_ngt_f32_e64 s[0:1], s3, v44
	v_add_f32_e32 v26, v60, v26
	v_add_f32_e32 v60, v26, v27
	v_mul_f32_e32 v27, v59, v13
	v_ldexp_f32 v26, v61, v45
	v_mul_f32_e32 v45, 0x3fb8aa3b, v27
	v_fma_f32 v61, v27, s17, -v45
	v_rndne_f32_e32 v62, v45
	v_fmac_f32_e32 v61, 0x32a5705f, v27
	v_sub_f32_e32 v45, v45, v62
	v_add_f32_e32 v45, v45, v61
	v_exp_f32_e32 v45, v45
	v_cvt_i32_f32_e32 v61, v62
	v_cndmask_b32_e64 v26, 0, v26, s[0:1]
	v_cmp_nlt_f32_e64 s[0:1], s16, v44
	v_mul_f32_e32 v67, v59, v8
	v_ldexp_f32 v44, v45, v61
	v_cndmask_b32_e64 v26, v1, v26, s[0:1]
	v_cmp_ngt_f32_e64 s[0:1], s3, v27
	v_pk_mul_f32 v[24:25], v[58:59], v[24:25] op_sel_hi:[0,1]
	v_pk_mul_f32 v[18:19], v[58:59], v[18:19] op_sel_hi:[0,1]
	v_cndmask_b32_e64 v44, 0, v44, s[0:1]
	v_cmp_nlt_f32_e64 s[0:1], s16, v27
	v_pk_mul_f32 v[20:21], v[58:59], v[20:21] op_sel_hi:[0,1]
	s_nop 0
	v_cndmask_b32_e64 v27, v1, v44, s[0:1]
	v_pk_mul_f32 v[44:45], v[58:59], v[68:69] op_sel_hi:[0,1]
	v_pk_fma_f32 v[44:45], v[28:29], v[26:27], v[44:45]
	v_mul_f32_e32 v28, v59, v6
	v_mul_f32_e32 v26, 0x3fb8aa3b, v28
	v_fma_f32 v27, v28, s17, -v26
	v_rndne_f32_e32 v29, v26
	v_fmac_f32_e32 v27, 0x32a5705f, v28
	v_sub_f32_e32 v26, v26, v29
	v_add_f32_e32 v26, v26, v27
	v_exp_f32_e32 v61, v26
	v_cvt_i32_f32_e32 v29, v29
	v_pk_mul_f32 v[26:27], v[76:77], v[44:45]
	v_cmp_ngt_f32_e64 s[0:1], s3, v28
	v_add_f32_e32 v26, v60, v26
	v_add_f32_e32 v66, v26, v27
	v_mul_f32_e32 v27, v59, v7
	v_ldexp_f32 v26, v61, v29
	v_mul_f32_e32 v29, 0x3fb8aa3b, v27
	v_fma_f32 v60, v27, s17, -v29
	v_rndne_f32_e32 v61, v29
	v_fmac_f32_e32 v60, 0x32a5705f, v27
	v_sub_f32_e32 v29, v29, v61
	v_add_f32_e32 v29, v29, v60
	v_exp_f32_e32 v29, v29
	v_cvt_i32_f32_e32 v60, v61
	v_cndmask_b32_e64 v26, 0, v26, s[0:1]
	v_cmp_nlt_f32_e64 s[0:1], s16, v28
	v_ldexp_f32 v28, v29, v60
	s_nop 0
	v_cndmask_b32_e64 v26, v1, v26, s[0:1]
	v_cmp_ngt_f32_e64 s[0:1], s3, v27
	s_nop 1
	v_cndmask_b32_e64 v28, 0, v28, s[0:1]
	v_cmp_nlt_f32_e64 s[0:1], s16, v27
	s_nop 1
	v_cndmask_b32_e64 v27, v1, v28, s[0:1]
	v_pk_fma_f32 v[46:47], v[46:47], v[26:27], v[22:23]
	ds_read_b128 v[26:29], v64 offset:96
	v_mul_f32_e32 v22, 0x3fb8aa3b, v67
	v_fma_f32 v23, v67, s17, -v22
	v_rndne_f32_e32 v60, v22
	v_fmac_f32_e32 v23, 0x32a5705f, v67
	v_sub_f32_e32 v22, v22, v60
	v_add_f32_e32 v22, v22, v23
	v_exp_f32_e32 v68, v22
	v_cvt_i32_f32_e32 v69, v60
	ds_read_b128 v[60:63], v64 offset:112
	s_waitcnt lgkmcnt(1)
	v_pk_mul_f32 v[22:23], v[26:27], v[46:47]
	v_cmp_ngt_f32_e64 s[0:1], s3, v67
	v_add_f32_e32 v22, v66, v22
	v_add_f32_e32 v26, v22, v23
	v_mul_f32_e32 v23, v59, v9
	v_mul_f32_e32 v27, 0x3fb8aa3b, v23
	v_fma_f32 v64, v23, s17, -v27
	v_rndne_f32_e32 v66, v27
	v_fmac_f32_e32 v64, 0x32a5705f, v23
	v_sub_f32_e32 v27, v27, v66
	v_add_f32_e32 v27, v27, v64
	v_exp_f32_e32 v27, v27
	v_cvt_i32_f32_e32 v64, v66
	v_ldexp_f32 v22, v68, v69
	v_cndmask_b32_e64 v22, 0, v22, s[0:1]
	v_cmp_nlt_f32_e64 s[0:1], s16, v67
	v_ldexp_f32 v27, v27, v64
	s_nop 0
	v_cndmask_b32_e64 v22, v1, v22, s[0:1]
	v_cmp_ngt_f32_e64 s[0:1], s3, v23
	s_nop 1
	v_cndmask_b32_e64 v27, 0, v27, s[0:1]
	v_cmp_nlt_f32_e64 s[0:1], s16, v23
	s_nop 1
	v_cndmask_b32_e64 v23, v1, v27, s[0:1]
	v_pk_fma_f32 v[48:49], v[48:49], v[22:23], v[24:25]
	v_mul_f32_e32 v24, v59, v2
	v_mul_f32_e32 v22, 0x3fb8aa3b, v24
	v_fma_f32 v23, v24, s17, -v22
	v_rndne_f32_e32 v25, v22
	v_fmac_f32_e32 v23, 0x32a5705f, v24
	v_sub_f32_e32 v22, v22, v25
	v_add_f32_e32 v22, v22, v23
	v_exp_f32_e32 v27, v22
	v_cvt_i32_f32_e32 v25, v25
	v_pk_mul_f32 v[22:23], v[28:29], v[48:49]
	v_cmp_ngt_f32_e64 s[0:1], s3, v24
	v_add_f32_e32 v22, v26, v22
	v_add_f32_e32 v26, v22, v23
	v_mul_f32_e32 v23, v59, v3
	v_ldexp_f32 v22, v27, v25
	v_mul_f32_e32 v25, 0x3fb8aa3b, v23
	v_fma_f32 v27, v23, s17, -v25
	v_rndne_f32_e32 v28, v25
	v_fmac_f32_e32 v27, 0x32a5705f, v23
	v_sub_f32_e32 v25, v25, v28
	v_add_f32_e32 v25, v25, v27
	v_exp_f32_e32 v25, v25
	v_cvt_i32_f32_e32 v27, v28
	v_cndmask_b32_e64 v22, 0, v22, s[0:1]
	v_cmp_nlt_f32_e64 s[0:1], s16, v24
	v_ldexp_f32 v24, v25, v27
	s_nop 0
	v_cndmask_b32_e64 v22, v1, v22, s[0:1]
	v_cmp_ngt_f32_e64 s[0:1], s3, v23
	s_nop 1
	v_cndmask_b32_e64 v24, 0, v24, s[0:1]
	v_cmp_nlt_f32_e64 s[0:1], s16, v23
	s_nop 1
	v_cndmask_b32_e64 v23, v1, v24, s[0:1]
	v_pk_fma_f32 v[50:51], v[50:51], v[22:23], v[18:19]
	v_mul_f32_e32 v22, v59, v4
	v_mul_f32_e32 v18, 0x3fb8aa3b, v22
	v_fma_f32 v19, v22, s17, -v18
	v_rndne_f32_e32 v23, v18
	v_fmac_f32_e32 v19, 0x32a5705f, v22
	v_sub_f32_e32 v18, v18, v23
	v_add_f32_e32 v18, v18, v19
	v_exp_f32_e32 v24, v18
	v_cvt_i32_f32_e32 v23, v23
	s_waitcnt lgkmcnt(0)
	v_pk_mul_f32 v[18:19], v[60:61], v[50:51]
	v_cmp_ngt_f32_e64 s[0:1], s3, v22
	v_add_f32_e32 v18, v26, v18
	v_add_f32_e32 v25, v18, v19
	v_mul_f32_e32 v19, v59, v5
	v_ldexp_f32 v18, v24, v23
	v_mul_f32_e32 v23, 0x3fb8aa3b, v19
	v_fma_f32 v24, v19, s17, -v23
	v_rndne_f32_e32 v26, v23
	v_fmac_f32_e32 v24, 0x32a5705f, v19
	v_sub_f32_e32 v23, v23, v26
	v_add_f32_e32 v23, v23, v24
	v_exp_f32_e32 v23, v23
	v_cvt_i32_f32_e32 v24, v26
	v_cndmask_b32_e64 v18, 0, v18, s[0:1]
	v_cmp_nlt_f32_e64 s[0:1], s16, v22
	v_ldexp_f32 v22, v23, v24
	s_nop 0
	v_cndmask_b32_e64 v18, v1, v18, s[0:1]
	v_cmp_ngt_f32_e64 s[0:1], s3, v19
	s_nop 1
	v_cndmask_b32_e64 v22, 0, v22, s[0:1]
	v_cmp_nlt_f32_e64 s[0:1], s16, v19
	s_nop 1
	v_cndmask_b32_e64 v19, v1, v22, s[0:1]
	v_pk_fma_f32 v[52:53], v[52:53], v[18:19], v[20:21]
	s_ashr_i64 s[0:1], s[12:13], 30
	v_pk_mul_f32 v[18:19], v[62:63], v[52:53]
	s_nop 0
	v_add_f32_e32 v1, v25, v18
	v_add_f32_e32 v1, v1, v19
	v_lshl_add_u64 v[18:19], v[30:31], 0, s[0:1]
	global_store_dword v[18:19], v1, off
	s_barrier
	s_and_saveexec_b64 s[0:1], vcc
	s_cbranch_execz .LBB7_10
; %bb.9:
	v_lshl_add_u64 v[18:19], s[4:5], 3, v[38:39]
	global_load_dword v1, v[18:19], off
	v_lshl_add_u64 v[18:19], s[6:7], 3, v[36:37]
	global_load_dword v18, v[18:19], off
	s_waitcnt vmcnt(1)
	ds_write_b32 v0, v1
	s_waitcnt vmcnt(0)
	ds_write_b32 v65, v18
.LBB7_10:
	s_or_b64 exec, exec, s[0:1]
	s_lshl_b64 s[16:17], s[14:15], 2
	v_lshl_add_u64 v[54:55], v[54:55], 0, s[16:17]
	s_waitcnt lgkmcnt(0)
	s_barrier
	global_load_dword v1, v[54:55], off
	s_mov_b32 s0, 0x41a00000
	s_waitcnt vmcnt(0)
	v_cmp_ge_f32_e64 s[0:1], s0, v1
	s_and_saveexec_b64 s[14:15], s[0:1]
	s_cbranch_execz .LBB7_12
; %bb.11:
	v_mul_f32_e32 v18, 0x3fb8aa3b, v1
	s_mov_b32 s0, 0x3fb8aa3b
	v_rndne_f32_e32 v19, v18
	v_sub_f32_e32 v20, v18, v19
	v_fma_f32 v18, v1, s0, -v18
	v_fmamk_f32 v18, v1, 0x32a5705f, v18
	v_add_f32_e32 v18, v20, v18
	v_exp_f32_e32 v18, v18
	v_cvt_i32_f32_e32 v19, v19
	s_mov_b32 s0, 0xc2ce8ed0
	v_cmp_ngt_f32_e64 s[0:1], s0, v1
	v_mov_b32_e32 v60, 0x7f800000
	v_ldexp_f32 v18, v18, v19
	v_cndmask_b32_e64 v18, 0, v18, s[0:1]
	s_mov_b32 s0, 0x42b17218
	v_cmp_nlt_f32_e64 s[0:1], s0, v1
	s_mov_b32 s3, 0x7f800000
	s_nop 0
	v_cndmask_b32_e64 v1, v60, v18, s[0:1]
	v_add_f32_e32 v20, 1.0, v1
	v_add_f32_e32 v18, -1.0, v20
	v_sub_f32_e32 v19, v18, v20
	v_add_f32_e32 v19, 1.0, v19
	v_sub_f32_e32 v18, v1, v18
	v_add_f32_e32 v21, v18, v19
	v_frexp_mant_f32_e32 v22, v20
	s_mov_b32 s0, 0x3f2aaaab
	v_cvt_f64_f32_e32 v[18:19], v20
	v_frexp_exp_i32_f64_e32 v18, v[18:19]
	v_cmp_gt_f32_e64 s[0:1], s0, v22
	s_nop 1
	v_subbrev_co_u32_e64 v26, s[0:1], 0, v18, s[0:1]
	v_sub_u32_e32 v18, 0, v26
	v_ldexp_f32 v19, v20, v18
	v_add_f32_e32 v20, -1.0, v19
	v_add_f32_e32 v22, 1.0, v19
	v_ldexp_f32 v18, v21, v18
	v_add_f32_e32 v21, 1.0, v20
	v_add_f32_e32 v23, -1.0, v22
	v_sub_f32_e32 v21, v19, v21
	v_sub_f32_e32 v19, v19, v23
	v_add_f32_e32 v21, v18, v21
	v_add_f32_e32 v18, v18, v19
	;; [unrolled: 1-line block ×3, first 2 shown]
	v_rcp_f32_e32 v29, v27
	v_sub_f32_e32 v19, v22, v27
	v_add_f32_e32 v28, v18, v19
	v_add_f32_e32 v19, v20, v21
	v_mul_f32_e32 v59, v19, v29
	v_sub_f32_e32 v18, v20, v19
	v_mul_f32_e32 v20, v27, v59
	v_fma_f32 v22, v59, v27, -v20
	v_fmac_f32_e32 v22, v59, v28
	v_add_f32_e32 v58, v21, v18
	v_add_f32_e32 v18, v20, v22
	v_sub_f32_e32 v21, v19, v18
	v_pk_add_f32 v[24:25], v[18:19], v[20:21] neg_lo:[0,1] neg_hi:[0,1]
	v_mov_b32_e32 v23, v18
	v_pk_add_f32 v[18:19], v[24:25], v[22:23] neg_lo:[0,1] neg_hi:[0,1]
	s_mov_b32 s0, 0x3f317218
	v_add_f32_e32 v19, v58, v19
	v_add_f32_e32 v18, v18, v19
	;; [unrolled: 1-line block ×3, first 2 shown]
	v_mul_f32_e32 v58, v29, v19
	v_mul_f32_e32 v20, v27, v58
	v_fma_f32 v22, v58, v27, -v20
	v_fmac_f32_e32 v22, v58, v28
	v_sub_f32_e32 v21, v21, v19
	v_add_f32_e32 v27, v18, v21
	v_add_f32_e32 v18, v20, v22
	v_sub_f32_e32 v21, v19, v18
	v_pk_add_f32 v[24:25], v[18:19], v[20:21] neg_lo:[0,1] neg_hi:[0,1]
	v_mov_b32_e32 v23, v18
	v_pk_add_f32 v[18:19], v[24:25], v[22:23] neg_lo:[0,1] neg_hi:[0,1]
	v_cvt_f32_i32_e32 v20, v26
	v_add_f32_e32 v19, v27, v19
	v_add_f32_e32 v18, v18, v19
	;; [unrolled: 1-line block ×4, first 2 shown]
	v_sub_f32_e32 v19, v21, v59
	v_mul_f32_e32 v18, v29, v18
	v_sub_f32_e32 v19, v58, v19
	v_add_f32_e32 v18, v19, v18
	v_add_f32_e32 v22, v21, v18
	v_mul_f32_e32 v24, v22, v22
	v_mov_b32_e32 v19, 0x3ecc95a3
	v_sub_f32_e32 v21, v22, v21
	v_fmac_f32_e32 v19, 0x3e9b6dac, v24
	v_sub_f32_e32 v18, v18, v21
	v_fmaak_f32 v19, v24, v19, 0x3f2aaada
	v_ldexp_f32 v25, v18, 1
	v_mul_f32_e32 v21, v22, v24
	v_mov_b32_e32 v18, 0x3f317218
	v_pk_mul_f32 v[18:19], v[20:21], v[18:19]
	v_ldexp_f32 v23, v22, 1
	v_fma_f32 v21, v20, s0, -v18
	v_fmamk_f32 v22, v20, 0xb102e308, v21
	v_pk_add_f32 v[20:21], v[18:19], v[22:23]
	v_mov_b32_e32 v24, v18
	v_sub_f32_e32 v23, v21, v23
	v_sub_f32_e32 v23, v19, v23
	v_add_f32_e32 v25, v25, v23
	v_pk_add_f32 v[18:19], v[20:21], v[18:19] neg_lo:[0,1] neg_hi:[0,1]
	v_pk_add_f32 v[26:27], v[20:21], v[24:25]
	v_mov_b32_e32 v23, v20
	v_mov_b32_e32 v19, v27
	v_pk_add_f32 v[28:29], v[22:23], v[18:19] neg_lo:[0,1] neg_hi:[0,1]
	v_pk_add_f32 v[18:19], v[22:23], v[18:19]
	v_mov_b32_e32 v24, v25
	v_pk_add_f32 v[22:23], v[18:19], v[20:21] op_sel:[1,0] op_sel_hi:[0,1] neg_lo:[0,1] neg_hi:[0,1]
	v_pk_add_f32 v[58:59], v[26:27], v[22:23] op_sel_hi:[1,0] neg_lo:[0,1] neg_hi:[0,1]
	v_mov_b32_e32 v26, v27
	v_mov_b32_e32 v27, v19
	v_pk_mov_b32 v[22:23], v[20:21], v[22:23] op_sel:[1,0]
	v_mov_b32_e32 v25, v20
	v_pk_add_f32 v[22:23], v[26:27], v[22:23] neg_lo:[0,1] neg_hi:[0,1]
	v_mov_b32_e32 v58, v28
	v_pk_add_f32 v[20:21], v[24:25], v[22:23] neg_lo:[0,1] neg_hi:[0,1]
	v_mov_b32_e32 v29, v19
	v_pk_add_f32 v[22:23], v[58:59], v[20:21]
	v_cmp_neq_f32_e64 s[0:1], s3, v1
	v_pk_add_f32 v[24:25], v[22:23], v[22:23] op_sel:[0,1] op_sel_hi:[1,0]
	s_nop 0
	v_pk_add_f32 v[18:19], v[18:19], v[24:25] op_sel:[1,0] op_sel_hi:[0,1]
	v_mov_b32_e32 v23, v18
	v_pk_add_f32 v[26:27], v[22:23], v[28:29] neg_lo:[0,1] neg_hi:[0,1]
	v_mov_b32_e32 v21, v24
	v_sub_f32_e32 v19, v22, v26
	v_pk_add_f32 v[20:21], v[20:21], v[26:27] neg_lo:[0,1] neg_hi:[0,1]
	v_sub_f32_e32 v19, v28, v19
	v_add_f32_e32 v19, v20, v19
	v_add_f32_e32 v19, v19, v21
	;; [unrolled: 1-line block ×3, first 2 shown]
	v_cndmask_b32_e64 v18, v60, v18, s[0:1]
	s_mov_b32 s0, 0x33800000
	v_cmp_gt_f32_e64 s[0:1], s0, v1
	s_nop 1
	v_cndmask_b32_e64 v1, v18, v1, s[0:1]
.LBB7_12:
	s_or_b64 exec, exec, s[14:15]
	s_lshl_b64 s[14:15], s[22:23], 2
	v_lshl_add_u64 v[56:57], v[56:57], 0, s[14:15]
	global_load_dword v58, v[56:57], off
	v_mul_f32_e32 v64, v1, v14
	s_mov_b32 s22, 0x3fb8aa3b
	v_mul_f32_e32 v75, v1, v15
	v_mul_f32_e32 v74, 0x3fb8aa3b, v64
	;; [unrolled: 1-line block ×4, first 2 shown]
	v_fma_f32 v84, v64, s22, -v74
	v_rndne_f32_e32 v85, v74
	v_mul_f32_e32 v77, v1, v17
	v_mul_f32_e32 v81, 0x3fb8aa3b, v76
	v_fma_f32 v86, v75, s22, -v80
	v_rndne_f32_e32 v87, v80
	v_fmac_f32_e32 v84, 0x32a5705f, v64
	v_sub_f32_e32 v74, v74, v85
	v_mul_f32_e32 v82, 0x3fb8aa3b, v77
	v_fma_f32 v88, v76, s22, -v81
	v_rndne_f32_e32 v90, v81
	v_fmac_f32_e32 v86, 0x32a5705f, v75
	v_sub_f32_e32 v80, v80, v87
	v_add_f32_e32 v74, v74, v84
	v_fma_f32 v89, v77, s22, -v82
	v_rndne_f32_e32 v91, v82
	v_fmac_f32_e32 v88, 0x32a5705f, v76
	v_sub_f32_e32 v81, v81, v90
	v_cvt_i32_f32_e32 v85, v85
	v_add_f32_e32 v80, v80, v86
	v_exp_f32_e32 v74, v74
	v_fmac_f32_e32 v89, 0x32a5705f, v77
	v_cvt_i32_f32_e32 v87, v87
	v_sub_f32_e32 v82, v82, v91
	v_add_f32_e32 v81, v81, v88
	v_exp_f32_e32 v80, v80
	v_cvt_i32_f32_e32 v90, v90
	v_add_f32_e32 v82, v82, v89
	v_exp_f32_e32 v81, v81
	s_mov_b32 s3, 0xc2ce8ed0
	v_cvt_i32_f32_e32 v91, v91
	v_exp_f32_e32 v82, v82
	v_ldexp_f32 v74, v74, v85
	v_cmp_ngt_f32_e64 s[0:1], s3, v64
	v_ldexp_f32 v80, v80, v87
	v_ldexp_f32 v81, v81, v90
	v_cndmask_b32_e64 v74, 0, v74, s[0:1]
	v_cmp_ngt_f32_e64 s[0:1], s3, v75
	s_mov_b32 s20, 0x42b17218
	v_mov_b32_e32 v78, 0
	v_cndmask_b32_e64 v80, 0, v80, s[0:1]
	v_cmp_ngt_f32_e64 s[0:1], s3, v76
	v_ldexp_f32 v82, v82, v91
	v_mov_b32_e32 v59, 0x7f800000
	v_cndmask_b32_e64 v81, 0, v81, s[0:1]
	v_cmp_ngt_f32_e64 s[0:1], s3, v77
	ds_read_b128 v[60:63], v78
	ds_read_b128 v[26:29], v78 offset:16
	ds_read_b128 v[22:25], v78 offset:32
	;; [unrolled: 1-line block ×3, first 2 shown]
	v_cndmask_b32_e64 v82, 0, v82, s[0:1]
	v_cmp_nlt_f32_e64 s[0:1], s20, v64
	v_mul_f32_e32 v79, v1, v10
	v_mul_f32_e32 v83, 0x3fb8aa3b, v79
	v_cndmask_b32_e64 v74, v59, v74, s[0:1]
	v_cmp_nlt_f32_e64 s[0:1], s20, v75
	v_fma_f32 v92, v79, s22, -v83
	v_rndne_f32_e32 v93, v83
	v_cndmask_b32_e64 v75, v59, v80, s[0:1]
	v_cmp_nlt_f32_e64 s[0:1], s20, v76
	v_fmac_f32_e32 v92, 0x32a5705f, v79
	v_sub_f32_e32 v83, v83, v93
	v_cndmask_b32_e64 v76, v59, v81, s[0:1]
	v_cmp_nlt_f32_e64 s[0:1], s20, v77
	v_add_f32_e32 v83, v83, v92
	v_cvt_i32_f32_e32 v93, v93
	v_cndmask_b32_e64 v77, v59, v82, s[0:1]
	v_exp_f32_e32 v83, v83
	v_cmp_ngt_f32_e64 s[0:1], s3, v79
	ds_read_b128 v[66:69], v78 offset:64
	ds_read_b128 v[70:73], v78 offset:80
	v_ldexp_f32 v83, v83, v93
	s_waitcnt vmcnt(0)
	v_mul_f32_e32 v58, v1, v58
	s_waitcnt lgkmcnt(5)
	v_pk_mul_f32 v[60:61], v[58:59], v[60:61] op_sel_hi:[0,1]
	v_pk_fma_f32 v[32:33], v[32:33], v[74:75], v[60:61]
	v_mul_f32_e32 v61, v1, v11
	v_pk_mul_f32 v[62:63], v[58:59], v[62:63] op_sel_hi:[0,1]
	v_mul_f32_e32 v60, 0x3fb8aa3b, v61
	v_pk_fma_f32 v[40:41], v[40:41], v[76:77], v[62:63]
	v_fma_f32 v63, v61, s22, -v60
	v_rndne_f32_e32 v64, v60
	v_fmac_f32_e32 v63, 0x32a5705f, v61
	v_sub_f32_e32 v60, v60, v64
	v_add_f32_e32 v60, v60, v63
	v_exp_f32_e32 v63, v60
	v_cvt_i32_f32_e32 v64, v64
	v_cndmask_b32_e64 v60, 0, v83, s[0:1]
	v_cmp_nlt_f32_e64 s[0:1], s20, v79
	s_waitcnt lgkmcnt(4)
	v_pk_mul_f32 v[26:27], v[58:59], v[26:27] op_sel_hi:[0,1]
	v_ldexp_f32 v63, v63, v64
	v_cndmask_b32_e64 v60, v59, v60, s[0:1]
	v_cmp_ngt_f32_e64 s[0:1], s3, v61
	s_waitcnt lgkmcnt(1)
	v_fma_f32 v62, v66, v32, 0
	v_fmac_f32_e32 v62, v67, v33
	v_cndmask_b32_e64 v63, 0, v63, s[0:1]
	v_cmp_nlt_f32_e64 s[0:1], s20, v61
	v_fmac_f32_e32 v62, v68, v40
	v_fmac_f32_e32 v62, v69, v41
	v_cndmask_b32_e64 v61, v59, v63, s[0:1]
	v_pk_fma_f32 v[42:43], v[42:43], v[60:61], v[26:27]
	v_mul_f32_e32 v60, v1, v12
	v_mul_f32_e32 v26, 0x3fb8aa3b, v60
	v_fma_f32 v27, v60, s22, -v26
	v_rndne_f32_e32 v61, v26
	v_fmac_f32_e32 v27, 0x32a5705f, v60
	v_sub_f32_e32 v26, v26, v61
	v_add_f32_e32 v26, v26, v27
	v_exp_f32_e32 v63, v26
	v_cvt_i32_f32_e32 v61, v61
	s_waitcnt lgkmcnt(0)
	v_pk_mul_f32 v[26:27], v[70:71], v[42:43]
	v_cmp_ngt_f32_e64 s[0:1], s3, v60
	v_add_f32_e32 v26, v62, v26
	v_add_f32_e32 v62, v26, v27
	v_mul_f32_e32 v27, v1, v13
	v_ldexp_f32 v26, v63, v61
	v_mul_f32_e32 v61, 0x3fb8aa3b, v27
	v_fma_f32 v63, v27, s22, -v61
	v_rndne_f32_e32 v64, v61
	v_fmac_f32_e32 v63, 0x32a5705f, v27
	v_sub_f32_e32 v61, v61, v64
	v_add_f32_e32 v61, v61, v63
	v_exp_f32_e32 v61, v61
	v_cvt_i32_f32_e32 v63, v64
	v_cndmask_b32_e64 v26, 0, v26, s[0:1]
	v_cmp_nlt_f32_e64 s[0:1], s20, v60
	v_pk_mul_f32 v[28:29], v[58:59], v[28:29] op_sel_hi:[0,1]
	v_ldexp_f32 v60, v61, v63
	v_cndmask_b32_e64 v26, v59, v26, s[0:1]
	v_cmp_ngt_f32_e64 s[0:1], s3, v27
	v_pk_mul_f32 v[22:23], v[58:59], v[22:23] op_sel_hi:[0,1]
	v_mul_f32_e32 v66, v1, v8
	v_cndmask_b32_e64 v60, 0, v60, s[0:1]
	v_cmp_nlt_f32_e64 s[0:1], s20, v27
	v_pk_mul_f32 v[24:25], v[58:59], v[24:25] op_sel_hi:[0,1]
	v_pk_mul_f32 v[18:19], v[58:59], v[18:19] op_sel_hi:[0,1]
	v_cndmask_b32_e64 v27, v59, v60, s[0:1]
	v_pk_fma_f32 v[44:45], v[44:45], v[26:27], v[28:29]
	v_mul_f32_e32 v28, v1, v6
	v_mul_f32_e32 v26, 0x3fb8aa3b, v28
	v_fma_f32 v27, v28, s22, -v26
	v_rndne_f32_e32 v29, v26
	v_fmac_f32_e32 v27, 0x32a5705f, v28
	v_sub_f32_e32 v26, v26, v29
	v_add_f32_e32 v26, v26, v27
	v_exp_f32_e32 v60, v26
	v_cvt_i32_f32_e32 v29, v29
	v_pk_mul_f32 v[26:27], v[72:73], v[44:45]
	v_cmp_ngt_f32_e64 s[0:1], s3, v28
	v_add_f32_e32 v26, v62, v26
	v_add_f32_e32 v64, v26, v27
	v_mul_f32_e32 v27, v1, v7
	v_ldexp_f32 v26, v60, v29
	v_mul_f32_e32 v29, 0x3fb8aa3b, v27
	v_fma_f32 v60, v27, s22, -v29
	v_rndne_f32_e32 v61, v29
	v_fmac_f32_e32 v60, 0x32a5705f, v27
	v_sub_f32_e32 v29, v29, v61
	v_add_f32_e32 v29, v29, v60
	v_exp_f32_e32 v29, v29
	v_cvt_i32_f32_e32 v60, v61
	v_cndmask_b32_e64 v26, 0, v26, s[0:1]
	v_cmp_nlt_f32_e64 s[0:1], s20, v28
	v_pk_mul_f32 v[20:21], v[58:59], v[20:21] op_sel_hi:[0,1]
	v_ldexp_f32 v28, v29, v60
	v_cndmask_b32_e64 v26, v59, v26, s[0:1]
	v_cmp_ngt_f32_e64 s[0:1], s3, v27
	s_nop 1
	v_cndmask_b32_e64 v28, 0, v28, s[0:1]
	v_cmp_nlt_f32_e64 s[0:1], s20, v27
	s_nop 1
	v_cndmask_b32_e64 v27, v59, v28, s[0:1]
	v_pk_fma_f32 v[46:47], v[46:47], v[26:27], v[22:23]
	ds_read_b128 v[26:29], v78 offset:96
	v_mul_f32_e32 v22, 0x3fb8aa3b, v66
	v_fma_f32 v23, v66, s22, -v22
	v_rndne_f32_e32 v60, v22
	v_fmac_f32_e32 v23, 0x32a5705f, v66
	v_sub_f32_e32 v22, v22, v60
	v_add_f32_e32 v22, v22, v23
	v_exp_f32_e32 v67, v22
	v_cvt_i32_f32_e32 v68, v60
	ds_read_b128 v[60:63], v78 offset:112
	s_waitcnt lgkmcnt(1)
	v_pk_mul_f32 v[22:23], v[26:27], v[46:47]
	v_cmp_ngt_f32_e64 s[0:1], s3, v66
	v_add_f32_e32 v22, v64, v22
	v_add_f32_e32 v26, v22, v23
	v_mul_f32_e32 v23, v1, v9
	v_mul_f32_e32 v27, 0x3fb8aa3b, v23
	v_ldexp_f32 v22, v67, v68
	v_fma_f32 v64, v23, s22, -v27
	v_rndne_f32_e32 v67, v27
	v_fmac_f32_e32 v64, 0x32a5705f, v23
	v_sub_f32_e32 v27, v27, v67
	v_add_f32_e32 v27, v27, v64
	v_exp_f32_e32 v27, v27
	v_cvt_i32_f32_e32 v64, v67
	v_cndmask_b32_e64 v22, 0, v22, s[0:1]
	v_cmp_nlt_f32_e64 s[0:1], s20, v66
	v_ldexp_f32 v27, v27, v64
	s_nop 0
	v_cndmask_b32_e64 v22, v59, v22, s[0:1]
	v_cmp_ngt_f32_e64 s[0:1], s3, v23
	s_nop 1
	v_cndmask_b32_e64 v27, 0, v27, s[0:1]
	v_cmp_nlt_f32_e64 s[0:1], s20, v23
	s_nop 1
	v_cndmask_b32_e64 v23, v59, v27, s[0:1]
	v_pk_fma_f32 v[48:49], v[48:49], v[22:23], v[24:25]
	v_mul_f32_e32 v24, v1, v2
	v_mul_f32_e32 v22, 0x3fb8aa3b, v24
	v_fma_f32 v23, v24, s22, -v22
	v_rndne_f32_e32 v25, v22
	v_fmac_f32_e32 v23, 0x32a5705f, v24
	v_sub_f32_e32 v22, v22, v25
	v_add_f32_e32 v22, v22, v23
	v_exp_f32_e32 v27, v22
	v_cvt_i32_f32_e32 v25, v25
	v_pk_mul_f32 v[22:23], v[28:29], v[48:49]
	v_cmp_ngt_f32_e64 s[0:1], s3, v24
	v_add_f32_e32 v22, v26, v22
	v_add_f32_e32 v26, v22, v23
	v_mul_f32_e32 v23, v1, v3
	v_ldexp_f32 v22, v27, v25
	v_mul_f32_e32 v25, 0x3fb8aa3b, v23
	v_fma_f32 v27, v23, s22, -v25
	v_rndne_f32_e32 v28, v25
	v_fmac_f32_e32 v27, 0x32a5705f, v23
	v_sub_f32_e32 v25, v25, v28
	v_add_f32_e32 v25, v25, v27
	v_exp_f32_e32 v25, v25
	v_cvt_i32_f32_e32 v27, v28
	v_cndmask_b32_e64 v22, 0, v22, s[0:1]
	v_cmp_nlt_f32_e64 s[0:1], s20, v24
	v_ldexp_f32 v24, v25, v27
	s_nop 0
	v_cndmask_b32_e64 v22, v59, v22, s[0:1]
	v_cmp_ngt_f32_e64 s[0:1], s3, v23
	s_nop 1
	v_cndmask_b32_e64 v24, 0, v24, s[0:1]
	v_cmp_nlt_f32_e64 s[0:1], s20, v23
	s_nop 1
	v_cndmask_b32_e64 v23, v59, v24, s[0:1]
	v_pk_fma_f32 v[50:51], v[50:51], v[22:23], v[18:19]
	v_mul_f32_e32 v22, v1, v4
	v_mul_f32_e32 v18, 0x3fb8aa3b, v22
	v_fma_f32 v19, v22, s22, -v18
	v_rndne_f32_e32 v23, v18
	v_fmac_f32_e32 v19, 0x32a5705f, v22
	v_sub_f32_e32 v18, v18, v23
	v_add_f32_e32 v18, v18, v19
	v_exp_f32_e32 v24, v18
	v_cvt_i32_f32_e32 v23, v23
	s_waitcnt lgkmcnt(0)
	v_pk_mul_f32 v[18:19], v[60:61], v[50:51]
	v_mul_f32_e32 v1, v1, v5
	v_add_f32_e32 v18, v26, v18
	v_add_f32_e32 v25, v18, v19
	v_mul_f32_e32 v19, 0x3fb8aa3b, v1
	v_ldexp_f32 v18, v24, v23
	v_fma_f32 v23, v1, s22, -v19
	v_rndne_f32_e32 v24, v19
	v_fmac_f32_e32 v23, 0x32a5705f, v1
	v_sub_f32_e32 v19, v19, v24
	v_add_f32_e32 v19, v19, v23
	v_exp_f32_e32 v19, v19
	v_cvt_i32_f32_e32 v23, v24
	v_cmp_ngt_f32_e64 s[0:1], s3, v22
	v_ldexp_f32 v19, v19, v23
	s_nop 0
	v_cndmask_b32_e64 v18, 0, v18, s[0:1]
	v_cmp_nlt_f32_e64 s[0:1], s20, v22
	s_nop 1
	v_cndmask_b32_e64 v18, v59, v18, s[0:1]
	v_cmp_ngt_f32_e64 s[0:1], s3, v1
	s_nop 1
	v_cndmask_b32_e64 v19, 0, v19, s[0:1]
	v_cmp_nlt_f32_e64 s[0:1], s20, v1
	s_nop 1
	v_cndmask_b32_e64 v19, v59, v19, s[0:1]
	v_pk_fma_f32 v[52:53], v[52:53], v[18:19], v[20:21]
	s_ashr_i64 s[0:1], s[12:13], 29
	v_pk_mul_f32 v[18:19], v[62:63], v[52:53]
	s_nop 0
	v_add_f32_e32 v1, v25, v18
	v_add_f32_e32 v1, v1, v19
	v_lshl_add_u64 v[18:19], v[30:31], 0, s[0:1]
	global_store_dword v[18:19], v1, off
	s_barrier
	s_and_saveexec_b64 s[0:1], vcc
	s_cbranch_execz .LBB7_14
; %bb.13:
	v_mad_i64_i32 v[18:19], s[22:23], s4, 12, v[38:39]
	global_load_dword v1, v[18:19], off
	v_mad_i64_i32 v[18:19], s[22:23], s6, 12, v[36:37]
	global_load_dword v18, v[18:19], off
	s_waitcnt vmcnt(1)
	ds_write_b32 v0, v1
	s_waitcnt vmcnt(0)
	ds_write_b32 v65, v18
.LBB7_14:
	s_or_b64 exec, exec, s[0:1]
	v_lshl_add_u64 v[54:55], v[54:55], 0, s[16:17]
	s_waitcnt lgkmcnt(0)
	s_barrier
	global_load_dword v1, v[54:55], off
	s_mov_b32 s0, 0x41a00000
	s_bfe_i64 s[10:11], s[10:11], 0x200000
	s_waitcnt vmcnt(0)
	v_cmp_ge_f32_e64 s[0:1], s0, v1
	s_and_saveexec_b64 s[22:23], s[0:1]
	s_cbranch_execz .LBB7_16
; %bb.15:
	v_mul_f32_e32 v18, 0x3fb8aa3b, v1
	s_mov_b32 s0, 0x3fb8aa3b
	v_rndne_f32_e32 v19, v18
	v_sub_f32_e32 v20, v18, v19
	v_fma_f32 v18, v1, s0, -v18
	v_fmamk_f32 v18, v1, 0x32a5705f, v18
	v_add_f32_e32 v18, v20, v18
	v_exp_f32_e32 v18, v18
	v_cvt_i32_f32_e32 v19, v19
	s_mov_b32 s0, 0xc2ce8ed0
	v_cmp_ngt_f32_e64 s[0:1], s0, v1
	v_mov_b32_e32 v60, 0x7f800000
	v_ldexp_f32 v18, v18, v19
	v_cndmask_b32_e64 v18, 0, v18, s[0:1]
	s_mov_b32 s0, 0x42b17218
	v_cmp_nlt_f32_e64 s[0:1], s0, v1
	s_mov_b32 s3, 0x7f800000
	s_nop 0
	v_cndmask_b32_e64 v1, v60, v18, s[0:1]
	v_add_f32_e32 v20, 1.0, v1
	v_add_f32_e32 v18, -1.0, v20
	v_sub_f32_e32 v19, v18, v20
	v_add_f32_e32 v19, 1.0, v19
	v_sub_f32_e32 v18, v1, v18
	v_add_f32_e32 v21, v18, v19
	v_frexp_mant_f32_e32 v22, v20
	s_mov_b32 s0, 0x3f2aaaab
	v_cvt_f64_f32_e32 v[18:19], v20
	v_frexp_exp_i32_f64_e32 v18, v[18:19]
	v_cmp_gt_f32_e64 s[0:1], s0, v22
	s_nop 1
	v_subbrev_co_u32_e64 v26, s[0:1], 0, v18, s[0:1]
	v_sub_u32_e32 v18, 0, v26
	v_ldexp_f32 v19, v20, v18
	v_add_f32_e32 v20, -1.0, v19
	v_add_f32_e32 v22, 1.0, v19
	v_ldexp_f32 v18, v21, v18
	v_add_f32_e32 v21, 1.0, v20
	v_add_f32_e32 v23, -1.0, v22
	v_sub_f32_e32 v21, v19, v21
	v_sub_f32_e32 v19, v19, v23
	v_add_f32_e32 v21, v18, v21
	v_add_f32_e32 v18, v18, v19
	v_add_f32_e32 v27, v22, v18
	v_rcp_f32_e32 v29, v27
	v_sub_f32_e32 v19, v22, v27
	v_add_f32_e32 v28, v18, v19
	v_add_f32_e32 v19, v20, v21
	v_mul_f32_e32 v59, v19, v29
	v_sub_f32_e32 v18, v20, v19
	v_mul_f32_e32 v20, v27, v59
	v_fma_f32 v22, v59, v27, -v20
	v_fmac_f32_e32 v22, v59, v28
	v_add_f32_e32 v58, v21, v18
	v_add_f32_e32 v18, v20, v22
	v_sub_f32_e32 v21, v19, v18
	v_pk_add_f32 v[24:25], v[18:19], v[20:21] neg_lo:[0,1] neg_hi:[0,1]
	v_mov_b32_e32 v23, v18
	v_pk_add_f32 v[18:19], v[24:25], v[22:23] neg_lo:[0,1] neg_hi:[0,1]
	s_mov_b32 s0, 0x3f317218
	v_add_f32_e32 v19, v58, v19
	v_add_f32_e32 v18, v18, v19
	v_add_f32_e32 v19, v21, v18
	v_mul_f32_e32 v58, v29, v19
	v_mul_f32_e32 v20, v27, v58
	v_fma_f32 v22, v58, v27, -v20
	v_fmac_f32_e32 v22, v58, v28
	v_sub_f32_e32 v21, v21, v19
	v_add_f32_e32 v27, v18, v21
	v_add_f32_e32 v18, v20, v22
	v_sub_f32_e32 v21, v19, v18
	v_pk_add_f32 v[24:25], v[18:19], v[20:21] neg_lo:[0,1] neg_hi:[0,1]
	v_mov_b32_e32 v23, v18
	v_pk_add_f32 v[18:19], v[24:25], v[22:23] neg_lo:[0,1] neg_hi:[0,1]
	v_cvt_f32_i32_e32 v20, v26
	v_add_f32_e32 v19, v27, v19
	v_add_f32_e32 v18, v18, v19
	;; [unrolled: 1-line block ×4, first 2 shown]
	v_sub_f32_e32 v19, v21, v59
	v_mul_f32_e32 v18, v29, v18
	v_sub_f32_e32 v19, v58, v19
	v_add_f32_e32 v18, v19, v18
	v_add_f32_e32 v22, v21, v18
	v_mul_f32_e32 v24, v22, v22
	v_mov_b32_e32 v19, 0x3ecc95a3
	v_sub_f32_e32 v21, v22, v21
	v_fmac_f32_e32 v19, 0x3e9b6dac, v24
	v_sub_f32_e32 v18, v18, v21
	v_fmaak_f32 v19, v24, v19, 0x3f2aaada
	v_ldexp_f32 v25, v18, 1
	v_mul_f32_e32 v21, v22, v24
	v_mov_b32_e32 v18, 0x3f317218
	v_pk_mul_f32 v[18:19], v[20:21], v[18:19]
	v_ldexp_f32 v23, v22, 1
	v_fma_f32 v21, v20, s0, -v18
	v_fmamk_f32 v22, v20, 0xb102e308, v21
	v_pk_add_f32 v[20:21], v[18:19], v[22:23]
	v_mov_b32_e32 v24, v18
	v_sub_f32_e32 v23, v21, v23
	v_sub_f32_e32 v23, v19, v23
	v_add_f32_e32 v25, v25, v23
	v_pk_add_f32 v[18:19], v[20:21], v[18:19] neg_lo:[0,1] neg_hi:[0,1]
	v_pk_add_f32 v[26:27], v[20:21], v[24:25]
	v_mov_b32_e32 v23, v20
	v_mov_b32_e32 v19, v27
	v_pk_add_f32 v[28:29], v[22:23], v[18:19] neg_lo:[0,1] neg_hi:[0,1]
	v_pk_add_f32 v[18:19], v[22:23], v[18:19]
	v_mov_b32_e32 v24, v25
	v_pk_add_f32 v[22:23], v[18:19], v[20:21] op_sel:[1,0] op_sel_hi:[0,1] neg_lo:[0,1] neg_hi:[0,1]
	v_pk_add_f32 v[58:59], v[26:27], v[22:23] op_sel_hi:[1,0] neg_lo:[0,1] neg_hi:[0,1]
	v_mov_b32_e32 v26, v27
	v_mov_b32_e32 v27, v19
	v_pk_mov_b32 v[22:23], v[20:21], v[22:23] op_sel:[1,0]
	v_mov_b32_e32 v25, v20
	v_pk_add_f32 v[22:23], v[26:27], v[22:23] neg_lo:[0,1] neg_hi:[0,1]
	v_mov_b32_e32 v58, v28
	v_pk_add_f32 v[20:21], v[24:25], v[22:23] neg_lo:[0,1] neg_hi:[0,1]
	v_mov_b32_e32 v29, v19
	v_pk_add_f32 v[22:23], v[58:59], v[20:21]
	v_cmp_neq_f32_e64 s[0:1], s3, v1
	v_pk_add_f32 v[24:25], v[22:23], v[22:23] op_sel:[0,1] op_sel_hi:[1,0]
	s_nop 0
	v_pk_add_f32 v[18:19], v[18:19], v[24:25] op_sel:[1,0] op_sel_hi:[0,1]
	v_mov_b32_e32 v23, v18
	v_pk_add_f32 v[26:27], v[22:23], v[28:29] neg_lo:[0,1] neg_hi:[0,1]
	v_mov_b32_e32 v21, v24
	v_sub_f32_e32 v19, v22, v26
	v_pk_add_f32 v[20:21], v[20:21], v[26:27] neg_lo:[0,1] neg_hi:[0,1]
	v_sub_f32_e32 v19, v28, v19
	v_add_f32_e32 v19, v20, v19
	v_add_f32_e32 v19, v19, v21
	;; [unrolled: 1-line block ×3, first 2 shown]
	v_cndmask_b32_e64 v18, v60, v18, s[0:1]
	s_mov_b32 s0, 0x33800000
	v_cmp_gt_f32_e64 s[0:1], s0, v1
	s_nop 1
	v_cndmask_b32_e64 v1, v18, v1, s[0:1]
.LBB7_16:
	s_or_b64 exec, exec, s[22:23]
	v_lshl_add_u64 v[56:57], v[56:57], 0, s[14:15]
	global_load_dword v64, v[56:57], off
	v_mul_f32_e32 v62, v1, v14
	s_mov_b32 s20, 0x3fb8aa3b
	v_mul_f32_e32 v63, v1, v15
	v_mul_f32_e32 v79, 0x3fb8aa3b, v62
	v_mul_f32_e32 v76, v1, v16
	v_mul_f32_e32 v80, 0x3fb8aa3b, v63
	v_fma_f32 v84, v62, s20, -v79
	v_rndne_f32_e32 v85, v79
	v_mul_f32_e32 v77, v1, v17
	v_mul_f32_e32 v81, 0x3fb8aa3b, v76
	v_fma_f32 v86, v63, s20, -v80
	v_rndne_f32_e32 v87, v80
	v_fmac_f32_e32 v84, 0x32a5705f, v62
	v_sub_f32_e32 v79, v79, v85
	v_mul_f32_e32 v82, 0x3fb8aa3b, v77
	v_fma_f32 v88, v76, s20, -v81
	v_rndne_f32_e32 v90, v81
	v_fmac_f32_e32 v86, 0x32a5705f, v63
	v_sub_f32_e32 v80, v80, v87
	v_add_f32_e32 v79, v79, v84
	v_fma_f32 v89, v77, s20, -v82
	v_rndne_f32_e32 v91, v82
	v_fmac_f32_e32 v88, 0x32a5705f, v76
	v_sub_f32_e32 v81, v81, v90
	v_cvt_i32_f32_e32 v85, v85
	v_add_f32_e32 v80, v80, v86
	v_exp_f32_e32 v79, v79
	v_fmac_f32_e32 v89, 0x32a5705f, v77
	v_cvt_i32_f32_e32 v87, v87
	v_sub_f32_e32 v82, v82, v91
	v_add_f32_e32 v81, v81, v88
	v_exp_f32_e32 v80, v80
	v_cvt_i32_f32_e32 v90, v90
	v_add_f32_e32 v82, v82, v89
	v_exp_f32_e32 v81, v81
	s_mov_b32 s3, 0xc2ce8ed0
	v_cvt_i32_f32_e32 v91, v91
	v_exp_f32_e32 v82, v82
	v_ldexp_f32 v79, v79, v85
	v_cmp_ngt_f32_e64 s[0:1], s3, v62
	v_ldexp_f32 v80, v80, v87
	v_ldexp_f32 v81, v81, v90
	v_cndmask_b32_e64 v79, 0, v79, s[0:1]
	v_cmp_ngt_f32_e64 s[0:1], s3, v63
	s_mov_b32 s11, 0x42b17218
	v_ldexp_f32 v82, v82, v91
	v_cndmask_b32_e64 v80, 0, v80, s[0:1]
	v_cmp_ngt_f32_e64 s[0:1], s3, v76
	v_mov_b32_e32 v66, 0x7f800000
	v_mov_b32_e32 v67, 0
	v_cndmask_b32_e64 v81, 0, v81, s[0:1]
	v_cmp_ngt_f32_e64 s[0:1], s3, v77
	ds_read_b128 v[58:61], v67
	ds_read_b128 v[26:29], v67 offset:16
	ds_read_b128 v[22:25], v67 offset:32
	;; [unrolled: 1-line block ×3, first 2 shown]
	v_cndmask_b32_e64 v82, 0, v82, s[0:1]
	v_cmp_nlt_f32_e64 s[0:1], s11, v62
	v_mul_f32_e32 v78, v1, v10
	v_mul_f32_e32 v83, 0x3fb8aa3b, v78
	v_cndmask_b32_e64 v62, v66, v79, s[0:1]
	v_cmp_nlt_f32_e64 s[0:1], s11, v63
	v_fma_f32 v92, v78, s20, -v83
	v_rndne_f32_e32 v93, v83
	v_cndmask_b32_e64 v63, v66, v80, s[0:1]
	v_cmp_nlt_f32_e64 s[0:1], s11, v76
	v_fmac_f32_e32 v92, 0x32a5705f, v78
	v_sub_f32_e32 v83, v83, v93
	v_cndmask_b32_e64 v76, v66, v81, s[0:1]
	v_cmp_nlt_f32_e64 s[0:1], s11, v77
	v_add_f32_e32 v83, v83, v92
	v_cvt_i32_f32_e32 v93, v93
	v_cndmask_b32_e64 v77, v66, v82, s[0:1]
	v_exp_f32_e32 v83, v83
	v_cmp_ngt_f32_e64 s[0:1], s3, v78
	ds_read_b128 v[68:71], v67 offset:64
	ds_read_b128 v[72:75], v67 offset:80
	v_ldexp_f32 v83, v83, v93
	s_waitcnt vmcnt(0)
	v_mul_f32_e32 v64, v1, v64
	s_waitcnt lgkmcnt(5)
	v_pk_mul_f32 v[58:59], v[64:65], v[58:59] op_sel_hi:[0,1]
	v_pk_mul_f32 v[60:61], v[64:65], v[60:61] op_sel_hi:[0,1]
	v_pk_fma_f32 v[32:33], v[32:33], v[62:63], v[58:59]
	v_pk_fma_f32 v[58:59], v[40:41], v[76:77], v[60:61]
	v_mul_f32_e32 v41, v1, v11
	v_mul_f32_e32 v40, 0x3fb8aa3b, v41
	v_fma_f32 v60, v41, s20, -v40
	v_rndne_f32_e32 v61, v40
	v_fmac_f32_e32 v60, 0x32a5705f, v41
	v_sub_f32_e32 v40, v40, v61
	v_add_f32_e32 v40, v40, v60
	v_exp_f32_e32 v60, v40
	v_cvt_i32_f32_e32 v61, v61
	v_cndmask_b32_e64 v40, 0, v83, s[0:1]
	v_cmp_nlt_f32_e64 s[0:1], s11, v78
	s_waitcnt lgkmcnt(4)
	v_pk_mul_f32 v[26:27], v[64:65], v[26:27] op_sel_hi:[0,1]
	v_ldexp_f32 v60, v60, v61
	v_cndmask_b32_e64 v40, v66, v40, s[0:1]
	v_cmp_ngt_f32_e64 s[0:1], s3, v41
	s_waitcnt lgkmcnt(1)
	v_fma_f32 v62, v68, v32, 0
	v_fmac_f32_e32 v62, v69, v33
	v_cndmask_b32_e64 v60, 0, v60, s[0:1]
	v_cmp_nlt_f32_e64 s[0:1], s11, v41
	v_fmac_f32_e32 v62, v70, v58
	v_fmac_f32_e32 v62, v71, v59
	v_cndmask_b32_e64 v41, v66, v60, s[0:1]
	v_pk_fma_f32 v[60:61], v[42:43], v[40:41], v[26:27]
	v_mul_f32_e32 v40, v1, v12
	v_mul_f32_e32 v26, 0x3fb8aa3b, v40
	v_fma_f32 v27, v40, s20, -v26
	v_rndne_f32_e32 v41, v26
	v_fmac_f32_e32 v27, 0x32a5705f, v40
	v_sub_f32_e32 v26, v26, v41
	v_add_f32_e32 v26, v26, v27
	v_exp_f32_e32 v42, v26
	v_cvt_i32_f32_e32 v41, v41
	s_waitcnt lgkmcnt(0)
	v_pk_mul_f32 v[26:27], v[72:73], v[60:61]
	v_cmp_ngt_f32_e64 s[0:1], s3, v40
	v_add_f32_e32 v26, v62, v26
	v_add_f32_e32 v43, v26, v27
	v_mul_f32_e32 v27, v1, v13
	v_ldexp_f32 v26, v42, v41
	v_mul_f32_e32 v41, 0x3fb8aa3b, v27
	v_fma_f32 v42, v27, s20, -v41
	v_rndne_f32_e32 v62, v41
	v_fmac_f32_e32 v42, 0x32a5705f, v27
	v_sub_f32_e32 v41, v41, v62
	v_add_f32_e32 v41, v41, v42
	v_exp_f32_e32 v41, v41
	v_cvt_i32_f32_e32 v42, v62
	v_cndmask_b32_e64 v26, 0, v26, s[0:1]
	v_cmp_nlt_f32_e64 s[0:1], s11, v40
	v_pk_mul_f32 v[28:29], v[64:65], v[28:29] op_sel_hi:[0,1]
	v_ldexp_f32 v40, v41, v42
	v_cndmask_b32_e64 v26, v66, v26, s[0:1]
	v_cmp_ngt_f32_e64 s[0:1], s3, v27
	v_pk_mul_f32 v[22:23], v[64:65], v[22:23] op_sel_hi:[0,1]
	v_pk_mul_f32 v[24:25], v[64:65], v[24:25] op_sel_hi:[0,1]
	v_cndmask_b32_e64 v40, 0, v40, s[0:1]
	v_cmp_nlt_f32_e64 s[0:1], s11, v27
	v_pk_mul_f32 v[18:19], v[64:65], v[18:19] op_sel_hi:[0,1]
	v_pk_mul_f32 v[20:21], v[64:65], v[20:21] op_sel_hi:[0,1]
	v_cndmask_b32_e64 v27, v66, v40, s[0:1]
	v_pk_fma_f32 v[62:63], v[44:45], v[26:27], v[28:29]
	v_mul_f32_e32 v28, v1, v6
	v_mul_f32_e32 v26, 0x3fb8aa3b, v28
	v_fma_f32 v27, v28, s20, -v26
	v_rndne_f32_e32 v29, v26
	v_fmac_f32_e32 v27, 0x32a5705f, v28
	v_sub_f32_e32 v26, v26, v29
	v_add_f32_e32 v26, v26, v27
	v_exp_f32_e32 v40, v26
	v_cvt_i32_f32_e32 v29, v29
	v_pk_mul_f32 v[26:27], v[74:75], v[62:63]
	v_cmp_ngt_f32_e64 s[0:1], s3, v28
	v_add_f32_e32 v26, v43, v26
	v_add_f32_e32 v44, v26, v27
	v_mul_f32_e32 v27, v1, v7
	v_ldexp_f32 v26, v40, v29
	v_mul_f32_e32 v29, 0x3fb8aa3b, v27
	v_fma_f32 v40, v27, s20, -v29
	v_rndne_f32_e32 v41, v29
	v_fmac_f32_e32 v40, 0x32a5705f, v27
	v_sub_f32_e32 v29, v29, v41
	v_add_f32_e32 v29, v29, v40
	v_exp_f32_e32 v29, v29
	v_cvt_i32_f32_e32 v40, v41
	v_cndmask_b32_e64 v26, 0, v26, s[0:1]
	v_cmp_nlt_f32_e64 s[0:1], s11, v28
	v_mul_f32_e32 v45, v1, v8
	v_ldexp_f32 v28, v29, v40
	v_cndmask_b32_e64 v26, v66, v26, s[0:1]
	v_cmp_ngt_f32_e64 s[0:1], s3, v27
	s_nop 1
	v_cndmask_b32_e64 v28, 0, v28, s[0:1]
	v_cmp_nlt_f32_e64 s[0:1], s11, v27
	s_nop 1
	v_cndmask_b32_e64 v27, v66, v28, s[0:1]
	v_pk_fma_f32 v[46:47], v[46:47], v[26:27], v[22:23]
	ds_read_b128 v[26:29], v67 offset:96
	v_mul_f32_e32 v22, 0x3fb8aa3b, v45
	v_fma_f32 v23, v45, s20, -v22
	v_rndne_f32_e32 v40, v22
	v_fmac_f32_e32 v23, 0x32a5705f, v45
	v_sub_f32_e32 v22, v22, v40
	v_add_f32_e32 v22, v22, v23
	v_exp_f32_e32 v68, v22
	v_cvt_i32_f32_e32 v69, v40
	ds_read_b128 v[40:43], v67 offset:112
	s_waitcnt lgkmcnt(1)
	v_pk_mul_f32 v[22:23], v[26:27], v[46:47]
	v_cmp_ngt_f32_e64 s[0:1], s3, v45
	v_add_f32_e32 v22, v44, v22
	v_add_f32_e32 v26, v22, v23
	v_mul_f32_e32 v23, v1, v9
	v_mul_f32_e32 v27, 0x3fb8aa3b, v23
	v_fma_f32 v44, v23, s20, -v27
	v_rndne_f32_e32 v67, v27
	v_fmac_f32_e32 v44, 0x32a5705f, v23
	v_sub_f32_e32 v27, v27, v67
	v_add_f32_e32 v27, v27, v44
	v_exp_f32_e32 v27, v27
	v_cvt_i32_f32_e32 v44, v67
	v_ldexp_f32 v22, v68, v69
	v_cndmask_b32_e64 v22, 0, v22, s[0:1]
	v_cmp_nlt_f32_e64 s[0:1], s11, v45
	v_ldexp_f32 v27, v27, v44
	s_nop 0
	v_cndmask_b32_e64 v22, v66, v22, s[0:1]
	v_cmp_ngt_f32_e64 s[0:1], s3, v23
	s_nop 1
	v_cndmask_b32_e64 v27, 0, v27, s[0:1]
	v_cmp_nlt_f32_e64 s[0:1], s11, v23
	s_nop 1
	v_cndmask_b32_e64 v23, v66, v27, s[0:1]
	v_pk_fma_f32 v[48:49], v[48:49], v[22:23], v[24:25]
	v_mul_f32_e32 v24, v1, v2
	v_mul_f32_e32 v22, 0x3fb8aa3b, v24
	v_fma_f32 v23, v24, s20, -v22
	v_rndne_f32_e32 v25, v22
	v_fmac_f32_e32 v23, 0x32a5705f, v24
	v_sub_f32_e32 v22, v22, v25
	v_add_f32_e32 v22, v22, v23
	v_exp_f32_e32 v27, v22
	v_cvt_i32_f32_e32 v25, v25
	v_pk_mul_f32 v[22:23], v[28:29], v[48:49]
	v_cmp_ngt_f32_e64 s[0:1], s3, v24
	v_add_f32_e32 v22, v26, v22
	v_add_f32_e32 v26, v22, v23
	v_mul_f32_e32 v23, v1, v3
	v_ldexp_f32 v22, v27, v25
	v_mul_f32_e32 v25, 0x3fb8aa3b, v23
	v_fma_f32 v27, v23, s20, -v25
	v_rndne_f32_e32 v28, v25
	v_fmac_f32_e32 v27, 0x32a5705f, v23
	v_sub_f32_e32 v25, v25, v28
	v_add_f32_e32 v25, v25, v27
	v_exp_f32_e32 v25, v25
	v_cvt_i32_f32_e32 v27, v28
	v_cndmask_b32_e64 v22, 0, v22, s[0:1]
	v_cmp_nlt_f32_e64 s[0:1], s11, v24
	v_ldexp_f32 v24, v25, v27
	s_nop 0
	v_cndmask_b32_e64 v22, v66, v22, s[0:1]
	v_cmp_ngt_f32_e64 s[0:1], s3, v23
	s_nop 1
	v_cndmask_b32_e64 v24, 0, v24, s[0:1]
	v_cmp_nlt_f32_e64 s[0:1], s11, v23
	s_nop 1
	v_cndmask_b32_e64 v23, v66, v24, s[0:1]
	v_pk_fma_f32 v[50:51], v[50:51], v[22:23], v[18:19]
	v_mul_f32_e32 v22, v1, v4
	v_mul_f32_e32 v18, 0x3fb8aa3b, v22
	v_fma_f32 v19, v22, s20, -v18
	v_rndne_f32_e32 v23, v18
	v_fmac_f32_e32 v19, 0x32a5705f, v22
	v_sub_f32_e32 v18, v18, v23
	v_add_f32_e32 v18, v18, v19
	v_exp_f32_e32 v24, v18
	v_cvt_i32_f32_e32 v23, v23
	s_waitcnt lgkmcnt(0)
	v_pk_mul_f32 v[18:19], v[40:41], v[50:51]
	v_mul_f32_e32 v1, v1, v5
	v_add_f32_e32 v18, v26, v18
	v_add_f32_e32 v25, v18, v19
	v_mul_f32_e32 v19, 0x3fb8aa3b, v1
	v_ldexp_f32 v18, v24, v23
	v_fma_f32 v23, v1, s20, -v19
	v_rndne_f32_e32 v24, v19
	v_fmac_f32_e32 v23, 0x32a5705f, v1
	v_sub_f32_e32 v19, v19, v24
	v_add_f32_e32 v19, v19, v23
	v_exp_f32_e32 v19, v19
	v_cvt_i32_f32_e32 v23, v24
	v_cmp_ngt_f32_e64 s[0:1], s3, v22
	v_ldexp_f32 v19, v19, v23
	s_nop 0
	v_cndmask_b32_e64 v18, 0, v18, s[0:1]
	v_cmp_nlt_f32_e64 s[0:1], s11, v22
	s_nop 1
	v_cndmask_b32_e64 v18, v66, v18, s[0:1]
	v_cmp_ngt_f32_e64 s[0:1], s3, v1
	s_nop 1
	v_cndmask_b32_e64 v19, 0, v19, s[0:1]
	v_cmp_nlt_f32_e64 s[0:1], s11, v1
	s_nop 1
	v_cndmask_b32_e64 v19, v66, v19, s[0:1]
	v_pk_fma_f32 v[52:53], v[52:53], v[18:19], v[20:21]
	s_nop 0
	v_pk_mul_f32 v[18:19], v[42:43], v[52:53]
	s_nop 0
	v_add_f32_e32 v1, v25, v18
	v_add_f32_e32 v1, v1, v19
	v_mad_i64_i32 v[18:19], s[0:1], s10, 12, v[30:31]
	global_store_dword v[18:19], v1, off
	s_barrier
	s_and_saveexec_b64 s[0:1], vcc
	s_cbranch_execz .LBB7_18
; %bb.17:
	v_lshl_add_u64 v[18:19], s[4:5], 4, v[38:39]
	global_load_dword v1, v[18:19], off
	v_lshl_add_u64 v[18:19], s[6:7], 4, v[36:37]
	global_load_dword v18, v[18:19], off
	s_waitcnt vmcnt(1)
	ds_write_b32 v0, v1
	s_waitcnt vmcnt(0)
	ds_write_b32 v65, v18
.LBB7_18:
	s_or_b64 exec, exec, s[0:1]
	v_lshl_add_u64 v[44:45], v[54:55], 0, s[16:17]
	s_waitcnt lgkmcnt(0)
	s_barrier
	global_load_dword v1, v[44:45], off
	s_mov_b32 s0, 0x41a00000
	s_waitcnt vmcnt(0)
	v_cmp_ge_f32_e64 s[0:1], s0, v1
	s_and_saveexec_b64 s[22:23], s[0:1]
	s_cbranch_execz .LBB7_20
; %bb.19:
	v_mul_f32_e32 v18, 0x3fb8aa3b, v1
	s_mov_b32 s0, 0x3fb8aa3b
	v_rndne_f32_e32 v19, v18
	v_sub_f32_e32 v20, v18, v19
	v_fma_f32 v18, v1, s0, -v18
	v_fmamk_f32 v18, v1, 0x32a5705f, v18
	v_add_f32_e32 v18, v20, v18
	v_exp_f32_e32 v18, v18
	v_cvt_i32_f32_e32 v19, v19
	s_mov_b32 s0, 0xc2ce8ed0
	v_cmp_ngt_f32_e64 s[0:1], s0, v1
	v_mov_b32_e32 v42, 0x7f800000
	v_ldexp_f32 v18, v18, v19
	v_cndmask_b32_e64 v18, 0, v18, s[0:1]
	s_mov_b32 s0, 0x42b17218
	v_cmp_nlt_f32_e64 s[0:1], s0, v1
	s_mov_b32 s3, 0x7f800000
	s_nop 0
	v_cndmask_b32_e64 v1, v42, v18, s[0:1]
	v_add_f32_e32 v20, 1.0, v1
	v_add_f32_e32 v18, -1.0, v20
	v_sub_f32_e32 v19, v18, v20
	v_add_f32_e32 v19, 1.0, v19
	v_sub_f32_e32 v18, v1, v18
	v_add_f32_e32 v21, v18, v19
	v_frexp_mant_f32_e32 v22, v20
	s_mov_b32 s0, 0x3f2aaaab
	v_cvt_f64_f32_e32 v[18:19], v20
	v_frexp_exp_i32_f64_e32 v18, v[18:19]
	v_cmp_gt_f32_e64 s[0:1], s0, v22
	s_nop 1
	v_subbrev_co_u32_e64 v26, s[0:1], 0, v18, s[0:1]
	v_sub_u32_e32 v18, 0, v26
	v_ldexp_f32 v19, v20, v18
	v_add_f32_e32 v20, -1.0, v19
	v_add_f32_e32 v22, 1.0, v19
	v_ldexp_f32 v18, v21, v18
	v_add_f32_e32 v21, 1.0, v20
	v_add_f32_e32 v23, -1.0, v22
	v_sub_f32_e32 v21, v19, v21
	v_sub_f32_e32 v19, v19, v23
	v_add_f32_e32 v21, v18, v21
	v_add_f32_e32 v18, v18, v19
	;; [unrolled: 1-line block ×3, first 2 shown]
	v_rcp_f32_e32 v29, v27
	v_sub_f32_e32 v19, v22, v27
	v_add_f32_e32 v28, v18, v19
	v_add_f32_e32 v19, v20, v21
	v_mul_f32_e32 v41, v19, v29
	v_sub_f32_e32 v18, v20, v19
	v_mul_f32_e32 v20, v27, v41
	v_fma_f32 v22, v41, v27, -v20
	v_fmac_f32_e32 v22, v41, v28
	v_add_f32_e32 v40, v21, v18
	v_add_f32_e32 v18, v20, v22
	v_sub_f32_e32 v21, v19, v18
	v_pk_add_f32 v[24:25], v[18:19], v[20:21] neg_lo:[0,1] neg_hi:[0,1]
	v_mov_b32_e32 v23, v18
	v_pk_add_f32 v[18:19], v[24:25], v[22:23] neg_lo:[0,1] neg_hi:[0,1]
	s_mov_b32 s0, 0x3f317218
	v_add_f32_e32 v19, v40, v19
	v_add_f32_e32 v18, v18, v19
	;; [unrolled: 1-line block ×3, first 2 shown]
	v_mul_f32_e32 v40, v29, v19
	v_mul_f32_e32 v20, v27, v40
	v_fma_f32 v22, v40, v27, -v20
	v_fmac_f32_e32 v22, v40, v28
	v_sub_f32_e32 v21, v21, v19
	v_add_f32_e32 v27, v18, v21
	v_add_f32_e32 v18, v20, v22
	v_sub_f32_e32 v21, v19, v18
	v_pk_add_f32 v[24:25], v[18:19], v[20:21] neg_lo:[0,1] neg_hi:[0,1]
	v_mov_b32_e32 v23, v18
	v_pk_add_f32 v[18:19], v[24:25], v[22:23] neg_lo:[0,1] neg_hi:[0,1]
	v_cvt_f32_i32_e32 v20, v26
	v_add_f32_e32 v19, v27, v19
	v_add_f32_e32 v18, v18, v19
	;; [unrolled: 1-line block ×4, first 2 shown]
	v_sub_f32_e32 v19, v21, v41
	v_mul_f32_e32 v18, v29, v18
	v_sub_f32_e32 v19, v40, v19
	v_add_f32_e32 v18, v19, v18
	v_add_f32_e32 v22, v21, v18
	v_mul_f32_e32 v24, v22, v22
	v_mov_b32_e32 v19, 0x3ecc95a3
	v_sub_f32_e32 v21, v22, v21
	v_fmac_f32_e32 v19, 0x3e9b6dac, v24
	v_sub_f32_e32 v18, v18, v21
	v_fmaak_f32 v19, v24, v19, 0x3f2aaada
	v_ldexp_f32 v25, v18, 1
	v_mul_f32_e32 v21, v22, v24
	v_mov_b32_e32 v18, 0x3f317218
	v_pk_mul_f32 v[18:19], v[20:21], v[18:19]
	v_ldexp_f32 v23, v22, 1
	v_fma_f32 v21, v20, s0, -v18
	v_fmamk_f32 v22, v20, 0xb102e308, v21
	v_pk_add_f32 v[20:21], v[18:19], v[22:23]
	v_mov_b32_e32 v24, v18
	v_sub_f32_e32 v23, v21, v23
	v_sub_f32_e32 v23, v19, v23
	v_add_f32_e32 v25, v25, v23
	v_pk_add_f32 v[18:19], v[20:21], v[18:19] neg_lo:[0,1] neg_hi:[0,1]
	v_pk_add_f32 v[26:27], v[20:21], v[24:25]
	v_mov_b32_e32 v23, v20
	v_mov_b32_e32 v19, v27
	v_pk_add_f32 v[28:29], v[22:23], v[18:19] neg_lo:[0,1] neg_hi:[0,1]
	v_pk_add_f32 v[18:19], v[22:23], v[18:19]
	v_mov_b32_e32 v24, v25
	v_pk_add_f32 v[22:23], v[18:19], v[20:21] op_sel:[1,0] op_sel_hi:[0,1] neg_lo:[0,1] neg_hi:[0,1]
	v_pk_add_f32 v[40:41], v[26:27], v[22:23] op_sel_hi:[1,0] neg_lo:[0,1] neg_hi:[0,1]
	v_mov_b32_e32 v26, v27
	v_mov_b32_e32 v27, v19
	v_pk_mov_b32 v[22:23], v[20:21], v[22:23] op_sel:[1,0]
	v_mov_b32_e32 v25, v20
	v_pk_add_f32 v[22:23], v[26:27], v[22:23] neg_lo:[0,1] neg_hi:[0,1]
	v_mov_b32_e32 v40, v28
	v_pk_add_f32 v[20:21], v[24:25], v[22:23] neg_lo:[0,1] neg_hi:[0,1]
	v_mov_b32_e32 v29, v19
	v_pk_add_f32 v[22:23], v[40:41], v[20:21]
	v_cmp_neq_f32_e64 s[0:1], s3, v1
	v_pk_add_f32 v[24:25], v[22:23], v[22:23] op_sel:[0,1] op_sel_hi:[1,0]
	s_nop 0
	v_pk_add_f32 v[18:19], v[18:19], v[24:25] op_sel:[1,0] op_sel_hi:[0,1]
	v_mov_b32_e32 v23, v18
	v_pk_add_f32 v[26:27], v[22:23], v[28:29] neg_lo:[0,1] neg_hi:[0,1]
	v_mov_b32_e32 v21, v24
	v_sub_f32_e32 v19, v22, v26
	v_pk_add_f32 v[20:21], v[20:21], v[26:27] neg_lo:[0,1] neg_hi:[0,1]
	v_sub_f32_e32 v19, v28, v19
	v_add_f32_e32 v19, v20, v19
	v_add_f32_e32 v19, v19, v21
	;; [unrolled: 1-line block ×3, first 2 shown]
	v_cndmask_b32_e64 v18, v42, v18, s[0:1]
	s_mov_b32 s0, 0x33800000
	v_cmp_gt_f32_e64 s[0:1], s0, v1
	s_nop 1
	v_cndmask_b32_e64 v1, v18, v1, s[0:1]
.LBB7_20:
	s_or_b64 exec, exec, s[22:23]
	v_lshl_add_u64 v[42:43], v[56:57], 0, s[14:15]
	global_load_dword v54, v[42:43], off
	v_mul_f32_e32 v40, v1, v14
	s_mov_b32 s7, 0x3fb8aa3b
	v_mul_f32_e32 v41, v1, v15
	v_mul_f32_e32 v79, 0x3fb8aa3b, v40
	;; [unrolled: 1-line block ×4, first 2 shown]
	v_fma_f32 v84, v40, s7, -v79
	v_rndne_f32_e32 v85, v79
	v_mul_f32_e32 v57, v1, v17
	v_mul_f32_e32 v81, 0x3fb8aa3b, v56
	v_fma_f32 v86, v41, s7, -v80
	v_rndne_f32_e32 v87, v80
	v_fmac_f32_e32 v84, 0x32a5705f, v40
	v_sub_f32_e32 v79, v79, v85
	v_mul_f32_e32 v82, 0x3fb8aa3b, v57
	v_fma_f32 v88, v56, s7, -v81
	v_rndne_f32_e32 v90, v81
	v_fmac_f32_e32 v86, 0x32a5705f, v41
	v_sub_f32_e32 v80, v80, v87
	v_add_f32_e32 v79, v79, v84
	v_fma_f32 v89, v57, s7, -v82
	v_rndne_f32_e32 v91, v82
	v_fmac_f32_e32 v88, 0x32a5705f, v56
	v_sub_f32_e32 v81, v81, v90
	v_cvt_i32_f32_e32 v85, v85
	v_add_f32_e32 v80, v80, v86
	v_exp_f32_e32 v79, v79
	v_fmac_f32_e32 v89, 0x32a5705f, v57
	v_cvt_i32_f32_e32 v87, v87
	v_sub_f32_e32 v82, v82, v91
	v_add_f32_e32 v81, v81, v88
	v_exp_f32_e32 v80, v80
	v_cvt_i32_f32_e32 v90, v90
	v_add_f32_e32 v82, v82, v89
	v_exp_f32_e32 v81, v81
	s_mov_b32 s3, 0xc2ce8ed0
	v_cvt_i32_f32_e32 v91, v91
	v_exp_f32_e32 v82, v82
	v_ldexp_f32 v79, v79, v85
	v_cmp_ngt_f32_e64 s[0:1], s3, v40
	v_ldexp_f32 v80, v80, v87
	v_ldexp_f32 v81, v81, v90
	v_cndmask_b32_e64 v79, 0, v79, s[0:1]
	v_cmp_ngt_f32_e64 s[0:1], s3, v41
	s_mov_b32 s5, 0x42b17218
	v_ldexp_f32 v82, v82, v91
	v_cndmask_b32_e64 v80, 0, v80, s[0:1]
	v_cmp_ngt_f32_e64 s[0:1], s3, v56
	v_mov_b32_e32 v55, 0x7f800000
	v_mov_b32_e32 v64, 0
	v_cndmask_b32_e64 v81, 0, v81, s[0:1]
	v_cmp_ngt_f32_e64 s[0:1], s3, v57
	ds_read_b128 v[66:69], v64
	ds_read_b128 v[26:29], v64 offset:16
	ds_read_b128 v[22:25], v64 offset:32
	;; [unrolled: 1-line block ×3, first 2 shown]
	v_cndmask_b32_e64 v82, 0, v82, s[0:1]
	v_cmp_nlt_f32_e64 s[0:1], s5, v40
	v_mul_f32_e32 v78, v1, v10
	v_mul_f32_e32 v83, 0x3fb8aa3b, v78
	v_cndmask_b32_e64 v40, v55, v79, s[0:1]
	v_cmp_nlt_f32_e64 s[0:1], s5, v41
	v_fma_f32 v92, v78, s7, -v83
	v_rndne_f32_e32 v93, v83
	v_cndmask_b32_e64 v41, v55, v80, s[0:1]
	v_cmp_nlt_f32_e64 s[0:1], s5, v56
	v_fmac_f32_e32 v92, 0x32a5705f, v78
	v_sub_f32_e32 v83, v83, v93
	v_cndmask_b32_e64 v56, v55, v81, s[0:1]
	v_cmp_nlt_f32_e64 s[0:1], s5, v57
	v_add_f32_e32 v83, v83, v92
	v_cvt_i32_f32_e32 v93, v93
	v_cndmask_b32_e64 v57, v55, v82, s[0:1]
	v_exp_f32_e32 v83, v83
	v_cmp_ngt_f32_e64 s[0:1], s3, v78
	ds_read_b128 v[70:73], v64 offset:64
	ds_read_b128 v[74:77], v64 offset:80
	v_ldexp_f32 v83, v83, v93
	s_waitcnt vmcnt(0)
	v_mul_f32_e32 v54, v1, v54
	s_waitcnt lgkmcnt(5)
	v_pk_mul_f32 v[66:67], v[54:55], v[66:67] op_sel_hi:[0,1]
	v_pk_mul_f32 v[68:69], v[54:55], v[68:69] op_sel_hi:[0,1]
	v_pk_fma_f32 v[40:41], v[32:33], v[40:41], v[66:67]
	v_pk_fma_f32 v[32:33], v[58:59], v[56:57], v[68:69]
	v_mul_f32_e32 v57, v1, v11
	v_mul_f32_e32 v56, 0x3fb8aa3b, v57
	v_fma_f32 v59, v57, s7, -v56
	v_rndne_f32_e32 v66, v56
	v_fmac_f32_e32 v59, 0x32a5705f, v57
	v_sub_f32_e32 v56, v56, v66
	v_add_f32_e32 v56, v56, v59
	v_exp_f32_e32 v59, v56
	v_cvt_i32_f32_e32 v66, v66
	v_cndmask_b32_e64 v56, 0, v83, s[0:1]
	v_cmp_nlt_f32_e64 s[0:1], s5, v78
	s_waitcnt lgkmcnt(4)
	v_pk_mul_f32 v[26:27], v[54:55], v[26:27] op_sel_hi:[0,1]
	v_ldexp_f32 v59, v59, v66
	v_cndmask_b32_e64 v56, v55, v56, s[0:1]
	v_cmp_ngt_f32_e64 s[0:1], s3, v57
	s_waitcnt lgkmcnt(1)
	v_fma_f32 v58, v70, v40, 0
	v_fmac_f32_e32 v58, v71, v41
	v_cndmask_b32_e64 v59, 0, v59, s[0:1]
	v_cmp_nlt_f32_e64 s[0:1], s5, v57
	v_fmac_f32_e32 v58, v72, v32
	v_fmac_f32_e32 v58, v73, v33
	v_cndmask_b32_e64 v57, v55, v59, s[0:1]
	v_mul_f32_e32 v59, v1, v12
	v_pk_fma_f32 v[26:27], v[60:61], v[56:57], v[26:27]
	v_mul_f32_e32 v56, 0x3fb8aa3b, v59
	v_fma_f32 v57, v59, s7, -v56
	v_rndne_f32_e32 v60, v56
	v_fmac_f32_e32 v57, 0x32a5705f, v59
	v_sub_f32_e32 v56, v56, v60
	v_add_f32_e32 v56, v56, v57
	v_exp_f32_e32 v61, v56
	v_cvt_i32_f32_e32 v60, v60
	s_waitcnt lgkmcnt(0)
	v_pk_mul_f32 v[56:57], v[74:75], v[26:27]
	v_cmp_ngt_f32_e64 s[0:1], s3, v59
	v_add_f32_e32 v56, v58, v56
	v_add_f32_e32 v58, v56, v57
	v_mul_f32_e32 v57, v1, v13
	v_ldexp_f32 v56, v61, v60
	v_mul_f32_e32 v60, 0x3fb8aa3b, v57
	v_fma_f32 v61, v57, s7, -v60
	v_rndne_f32_e32 v66, v60
	v_fmac_f32_e32 v61, 0x32a5705f, v57
	v_sub_f32_e32 v60, v60, v66
	v_add_f32_e32 v60, v60, v61
	v_exp_f32_e32 v60, v60
	v_cvt_i32_f32_e32 v61, v66
	v_cndmask_b32_e64 v56, 0, v56, s[0:1]
	v_cmp_nlt_f32_e64 s[0:1], s5, v59
	v_pk_mul_f32 v[28:29], v[54:55], v[28:29] op_sel_hi:[0,1]
	v_ldexp_f32 v59, v60, v61
	v_cndmask_b32_e64 v56, v55, v56, s[0:1]
	v_cmp_ngt_f32_e64 s[0:1], s3, v57
	v_pk_mul_f32 v[22:23], v[54:55], v[22:23] op_sel_hi:[0,1]
	v_mul_f32_e32 v67, v1, v8
	v_cndmask_b32_e64 v59, 0, v59, s[0:1]
	v_cmp_nlt_f32_e64 s[0:1], s5, v57
	v_pk_mul_f32 v[24:25], v[54:55], v[24:25] op_sel_hi:[0,1]
	v_pk_mul_f32 v[18:19], v[54:55], v[18:19] op_sel_hi:[0,1]
	v_cndmask_b32_e64 v57, v55, v59, s[0:1]
	v_mul_f32_e32 v59, v1, v6
	v_pk_fma_f32 v[28:29], v[62:63], v[56:57], v[28:29]
	v_mul_f32_e32 v56, 0x3fb8aa3b, v59
	v_fma_f32 v57, v59, s7, -v56
	v_rndne_f32_e32 v60, v56
	v_fmac_f32_e32 v57, 0x32a5705f, v59
	v_sub_f32_e32 v56, v56, v60
	v_add_f32_e32 v56, v56, v57
	v_exp_f32_e32 v61, v56
	v_cvt_i32_f32_e32 v60, v60
	v_pk_mul_f32 v[56:57], v[76:77], v[28:29]
	v_cmp_ngt_f32_e64 s[0:1], s3, v59
	v_add_f32_e32 v56, v58, v56
	v_add_f32_e32 v66, v56, v57
	v_mul_f32_e32 v57, v1, v7
	v_mul_f32_e32 v58, 0x3fb8aa3b, v57
	v_ldexp_f32 v56, v61, v60
	v_fma_f32 v60, v57, s7, -v58
	v_rndne_f32_e32 v61, v58
	v_fmac_f32_e32 v60, 0x32a5705f, v57
	v_sub_f32_e32 v58, v58, v61
	v_add_f32_e32 v58, v58, v60
	v_exp_f32_e32 v58, v58
	v_cvt_i32_f32_e32 v60, v61
	v_cndmask_b32_e64 v56, 0, v56, s[0:1]
	v_cmp_nlt_f32_e64 s[0:1], s5, v59
	v_pk_mul_f32 v[20:21], v[54:55], v[20:21] op_sel_hi:[0,1]
	v_ldexp_f32 v58, v58, v60
	v_cndmask_b32_e64 v56, v55, v56, s[0:1]
	v_cmp_ngt_f32_e64 s[0:1], s3, v57
	s_nop 1
	v_cndmask_b32_e64 v58, 0, v58, s[0:1]
	v_cmp_nlt_f32_e64 s[0:1], s5, v57
	s_nop 1
	v_cndmask_b32_e64 v57, v55, v58, s[0:1]
	v_pk_fma_f32 v[22:23], v[46:47], v[56:57], v[22:23]
	ds_read_b128 v[56:59], v64 offset:96
	v_mul_f32_e32 v46, 0x3fb8aa3b, v67
	v_fma_f32 v47, v67, s7, -v46
	v_rndne_f32_e32 v60, v46
	v_fmac_f32_e32 v47, 0x32a5705f, v67
	v_sub_f32_e32 v46, v46, v60
	v_add_f32_e32 v46, v46, v47
	v_exp_f32_e32 v68, v46
	v_cvt_i32_f32_e32 v69, v60
	ds_read_b128 v[60:63], v64 offset:112
	s_waitcnt lgkmcnt(1)
	v_pk_mul_f32 v[46:47], v[56:57], v[22:23]
	v_cmp_ngt_f32_e64 s[0:1], s3, v67
	v_add_f32_e32 v46, v66, v46
	v_add_f32_e32 v56, v46, v47
	v_mul_f32_e32 v47, v1, v9
	v_mul_f32_e32 v57, 0x3fb8aa3b, v47
	v_fma_f32 v64, v47, s7, -v57
	v_rndne_f32_e32 v66, v57
	v_fmac_f32_e32 v64, 0x32a5705f, v47
	v_sub_f32_e32 v57, v57, v66
	v_add_f32_e32 v57, v57, v64
	v_exp_f32_e32 v57, v57
	v_cvt_i32_f32_e32 v64, v66
	v_ldexp_f32 v46, v68, v69
	v_cndmask_b32_e64 v46, 0, v46, s[0:1]
	v_cmp_nlt_f32_e64 s[0:1], s5, v67
	v_ldexp_f32 v57, v57, v64
	s_nop 0
	v_cndmask_b32_e64 v46, v55, v46, s[0:1]
	v_cmp_ngt_f32_e64 s[0:1], s3, v47
	s_nop 1
	v_cndmask_b32_e64 v57, 0, v57, s[0:1]
	v_cmp_nlt_f32_e64 s[0:1], s5, v47
	s_nop 1
	v_cndmask_b32_e64 v47, v55, v57, s[0:1]
	v_pk_fma_f32 v[24:25], v[48:49], v[46:47], v[24:25]
	v_mul_f32_e32 v48, v1, v2
	v_mul_f32_e32 v46, 0x3fb8aa3b, v48
	v_fma_f32 v47, v48, s7, -v46
	v_rndne_f32_e32 v49, v46
	v_fmac_f32_e32 v47, 0x32a5705f, v48
	v_sub_f32_e32 v46, v46, v49
	v_add_f32_e32 v46, v46, v47
	v_exp_f32_e32 v57, v46
	v_cvt_i32_f32_e32 v49, v49
	v_pk_mul_f32 v[46:47], v[58:59], v[24:25]
	v_cmp_ngt_f32_e64 s[0:1], s3, v48
	v_add_f32_e32 v46, v56, v46
	v_add_f32_e32 v56, v46, v47
	v_mul_f32_e32 v47, v1, v3
	v_ldexp_f32 v46, v57, v49
	v_mul_f32_e32 v49, 0x3fb8aa3b, v47
	v_fma_f32 v57, v47, s7, -v49
	v_rndne_f32_e32 v58, v49
	v_fmac_f32_e32 v57, 0x32a5705f, v47
	v_sub_f32_e32 v49, v49, v58
	v_add_f32_e32 v49, v49, v57
	v_exp_f32_e32 v49, v49
	v_cvt_i32_f32_e32 v57, v58
	v_cndmask_b32_e64 v46, 0, v46, s[0:1]
	v_cmp_nlt_f32_e64 s[0:1], s5, v48
	v_ldexp_f32 v48, v49, v57
	s_nop 0
	v_cndmask_b32_e64 v46, v55, v46, s[0:1]
	v_cmp_ngt_f32_e64 s[0:1], s3, v47
	s_nop 1
	v_cndmask_b32_e64 v48, 0, v48, s[0:1]
	v_cmp_nlt_f32_e64 s[0:1], s5, v47
	s_nop 1
	v_cndmask_b32_e64 v47, v55, v48, s[0:1]
	v_mul_f32_e32 v48, v1, v4
	v_pk_fma_f32 v[18:19], v[50:51], v[46:47], v[18:19]
	v_mul_f32_e32 v46, 0x3fb8aa3b, v48
	v_fma_f32 v47, v48, s7, -v46
	v_rndne_f32_e32 v49, v46
	v_fmac_f32_e32 v47, 0x32a5705f, v48
	v_sub_f32_e32 v46, v46, v49
	v_add_f32_e32 v46, v46, v47
	v_exp_f32_e32 v50, v46
	v_cvt_i32_f32_e32 v49, v49
	s_waitcnt lgkmcnt(0)
	v_pk_mul_f32 v[46:47], v[60:61], v[18:19]
	v_mul_f32_e32 v1, v1, v5
	v_add_f32_e32 v46, v56, v46
	v_add_f32_e32 v51, v46, v47
	v_mul_f32_e32 v47, 0x3fb8aa3b, v1
	v_ldexp_f32 v46, v50, v49
	v_fma_f32 v49, v1, s7, -v47
	v_rndne_f32_e32 v50, v47
	v_fmac_f32_e32 v49, 0x32a5705f, v1
	v_sub_f32_e32 v47, v47, v50
	v_add_f32_e32 v47, v47, v49
	v_exp_f32_e32 v47, v47
	v_cvt_i32_f32_e32 v49, v50
	v_cmp_ngt_f32_e64 s[0:1], s3, v48
	v_ldexp_f32 v47, v47, v49
	s_nop 0
	v_cndmask_b32_e64 v46, 0, v46, s[0:1]
	v_cmp_nlt_f32_e64 s[0:1], s5, v48
	s_nop 1
	v_cndmask_b32_e64 v46, v55, v46, s[0:1]
	v_cmp_ngt_f32_e64 s[0:1], s3, v1
	s_nop 1
	v_cndmask_b32_e64 v47, 0, v47, s[0:1]
	v_cmp_nlt_f32_e64 s[0:1], s5, v1
	s_nop 1
	v_cndmask_b32_e64 v47, v55, v47, s[0:1]
	v_pk_fma_f32 v[20:21], v[52:53], v[46:47], v[20:21]
	s_ashr_i64 s[0:1], s[12:13], 28
	v_pk_mul_f32 v[46:47], v[62:63], v[20:21]
	s_nop 0
	v_add_f32_e32 v1, v51, v46
	v_add_f32_e32 v1, v1, v47
	v_lshl_add_u64 v[46:47], v[30:31], 0, s[0:1]
	global_store_dword v[46:47], v1, off
	s_barrier
	s_and_saveexec_b64 s[0:1], vcc
	s_cbranch_execz .LBB7_22
; %bb.21:
	v_mad_i64_i32 v[38:39], s[4:5], s4, 20, v[38:39]
	global_load_dword v1, v[38:39], off
	v_mad_i64_i32 v[36:37], s[4:5], s6, 20, v[36:37]
	global_load_dword v36, v[36:37], off
	s_waitcnt vmcnt(1)
	ds_write_b32 v0, v1
	s_waitcnt vmcnt(0)
	ds_write_b32 v65, v36
.LBB7_22:
	s_or_b64 exec, exec, s[0:1]
	v_lshl_add_u64 v[0:1], v[44:45], 0, s[16:17]
	s_waitcnt lgkmcnt(0)
	s_barrier
	global_load_dword v1, v[0:1], off
	s_mov_b32 s0, 0x41a00000
	s_waitcnt vmcnt(0)
	v_cmp_ge_f32_e32 vcc, s0, v1
	s_and_saveexec_b64 s[0:1], vcc
	s_cbranch_execz .LBB7_24
; %bb.23:
	v_mul_f32_e32 v0, 0x3fb8aa3b, v1
	s_mov_b32 s3, 0x3fb8aa3b
	v_rndne_f32_e32 v36, v0
	v_sub_f32_e32 v37, v0, v36
	v_fma_f32 v0, v1, s3, -v0
	v_fmamk_f32 v0, v1, 0x32a5705f, v0
	v_add_f32_e32 v0, v37, v0
	v_exp_f32_e32 v0, v0
	v_cvt_i32_f32_e32 v36, v36
	s_mov_b32 s3, 0xc2ce8ed0
	v_cmp_ngt_f32_e32 vcc, s3, v1
	s_mov_b32 s3, 0x42b17218
	v_ldexp_f32 v0, v0, v36
	v_cndmask_b32_e32 v0, 0, v0, vcc
	v_mov_b32_e32 v52, 0x7f800000
	v_cmp_nlt_f32_e32 vcc, s3, v1
	s_mov_b32 s3, 0x3f2aaaab
	s_mov_b32 s4, 0x7f800000
	v_cndmask_b32_e32 v53, v52, v0, vcc
	v_add_f32_e32 v36, 1.0, v53
	v_add_f32_e32 v0, -1.0, v36
	v_sub_f32_e32 v1, v0, v36
	v_add_f32_e32 v1, 1.0, v1
	v_sub_f32_e32 v0, v53, v0
	v_add_f32_e32 v37, v0, v1
	v_frexp_mant_f32_e32 v38, v36
	v_cvt_f64_f32_e32 v[0:1], v36
	v_frexp_exp_i32_f64_e32 v0, v[0:1]
	v_cmp_gt_f32_e32 vcc, s3, v38
	s_mov_b32 s3, 0x3f317218
	s_nop 0
	v_subbrev_co_u32_e32 v46, vcc, 0, v0, vcc
	v_sub_u32_e32 v0, 0, v46
	v_ldexp_f32 v1, v36, v0
	v_add_f32_e32 v36, -1.0, v1
	v_add_f32_e32 v38, 1.0, v1
	v_ldexp_f32 v0, v37, v0
	v_add_f32_e32 v37, 1.0, v36
	v_add_f32_e32 v39, -1.0, v38
	v_sub_f32_e32 v37, v1, v37
	v_sub_f32_e32 v1, v1, v39
	v_add_f32_e32 v37, v0, v37
	v_add_f32_e32 v0, v0, v1
	;; [unrolled: 1-line block ×3, first 2 shown]
	v_rcp_f32_e32 v49, v47
	v_sub_f32_e32 v1, v38, v47
	v_add_f32_e32 v48, v0, v1
	v_add_f32_e32 v1, v36, v37
	v_mul_f32_e32 v51, v1, v49
	v_sub_f32_e32 v0, v36, v1
	v_mul_f32_e32 v36, v47, v51
	v_fma_f32 v38, v51, v47, -v36
	v_fmac_f32_e32 v38, v51, v48
	v_add_f32_e32 v50, v37, v0
	v_add_f32_e32 v0, v36, v38
	v_sub_f32_e32 v37, v1, v0
	v_pk_add_f32 v[44:45], v[0:1], v[36:37] neg_lo:[0,1] neg_hi:[0,1]
	v_mov_b32_e32 v39, v0
	v_pk_add_f32 v[0:1], v[44:45], v[38:39] neg_lo:[0,1] neg_hi:[0,1]
	v_cmp_neq_f32_e32 vcc, s4, v53
	v_add_f32_e32 v1, v50, v1
	v_add_f32_e32 v0, v0, v1
	;; [unrolled: 1-line block ×3, first 2 shown]
	v_mul_f32_e32 v50, v49, v1
	v_mul_f32_e32 v36, v47, v50
	v_fma_f32 v38, v50, v47, -v36
	v_fmac_f32_e32 v38, v50, v48
	v_sub_f32_e32 v37, v37, v1
	v_add_f32_e32 v47, v0, v37
	v_add_f32_e32 v0, v36, v38
	v_sub_f32_e32 v37, v1, v0
	v_pk_add_f32 v[44:45], v[0:1], v[36:37] neg_lo:[0,1] neg_hi:[0,1]
	v_mov_b32_e32 v39, v0
	v_pk_add_f32 v[0:1], v[44:45], v[38:39] neg_lo:[0,1] neg_hi:[0,1]
	v_cvt_f32_i32_e32 v36, v46
	v_add_f32_e32 v1, v47, v1
	v_add_f32_e32 v0, v0, v1
	;; [unrolled: 1-line block ×4, first 2 shown]
	v_sub_f32_e32 v1, v37, v51
	v_mul_f32_e32 v0, v49, v0
	v_sub_f32_e32 v1, v50, v1
	v_add_f32_e32 v0, v1, v0
	v_add_f32_e32 v38, v37, v0
	v_mul_f32_e32 v44, v38, v38
	v_mov_b32_e32 v1, 0x3ecc95a3
	v_sub_f32_e32 v37, v38, v37
	v_fmac_f32_e32 v1, 0x3e9b6dac, v44
	v_sub_f32_e32 v0, v0, v37
	v_fmaak_f32 v1, v44, v1, 0x3f2aaada
	v_ldexp_f32 v45, v0, 1
	v_mul_f32_e32 v37, v38, v44
	v_mov_b32_e32 v0, 0x3f317218
	v_pk_mul_f32 v[0:1], v[36:37], v[0:1]
	v_ldexp_f32 v39, v38, 1
	v_fma_f32 v37, v36, s3, -v0
	v_fmamk_f32 v38, v36, 0xb102e308, v37
	v_pk_add_f32 v[36:37], v[0:1], v[38:39]
	v_mov_b32_e32 v44, v0
	v_sub_f32_e32 v39, v37, v39
	v_sub_f32_e32 v39, v1, v39
	v_add_f32_e32 v45, v45, v39
	v_pk_add_f32 v[0:1], v[36:37], v[0:1] neg_lo:[0,1] neg_hi:[0,1]
	v_pk_add_f32 v[46:47], v[36:37], v[44:45]
	v_mov_b32_e32 v39, v36
	v_mov_b32_e32 v1, v47
	v_pk_add_f32 v[48:49], v[38:39], v[0:1] neg_lo:[0,1] neg_hi:[0,1]
	v_pk_add_f32 v[0:1], v[38:39], v[0:1]
	v_mov_b32_e32 v44, v45
	v_pk_add_f32 v[38:39], v[0:1], v[36:37] op_sel:[1,0] op_sel_hi:[0,1] neg_lo:[0,1] neg_hi:[0,1]
	v_pk_add_f32 v[50:51], v[46:47], v[38:39] op_sel_hi:[1,0] neg_lo:[0,1] neg_hi:[0,1]
	v_mov_b32_e32 v46, v47
	v_mov_b32_e32 v47, v1
	v_pk_mov_b32 v[38:39], v[36:37], v[38:39] op_sel:[1,0]
	v_mov_b32_e32 v45, v36
	v_pk_add_f32 v[38:39], v[46:47], v[38:39] neg_lo:[0,1] neg_hi:[0,1]
	v_mov_b32_e32 v50, v48
	v_pk_add_f32 v[36:37], v[44:45], v[38:39] neg_lo:[0,1] neg_hi:[0,1]
	v_mov_b32_e32 v49, v1
	v_pk_add_f32 v[38:39], v[50:51], v[36:37]
	s_mov_b32 s3, 0x33800000
	v_pk_add_f32 v[44:45], v[38:39], v[38:39] op_sel:[0,1] op_sel_hi:[1,0]
	s_nop 0
	v_pk_add_f32 v[0:1], v[0:1], v[44:45] op_sel:[1,0] op_sel_hi:[0,1]
	v_mov_b32_e32 v39, v0
	v_pk_add_f32 v[46:47], v[38:39], v[48:49] neg_lo:[0,1] neg_hi:[0,1]
	v_mov_b32_e32 v37, v44
	v_sub_f32_e32 v1, v38, v46
	v_pk_add_f32 v[36:37], v[36:37], v[46:47] neg_lo:[0,1] neg_hi:[0,1]
	v_sub_f32_e32 v1, v48, v1
	v_add_f32_e32 v1, v36, v1
	v_add_f32_e32 v1, v1, v37
	;; [unrolled: 1-line block ×3, first 2 shown]
	v_cndmask_b32_e32 v0, v52, v0, vcc
	v_cmp_gt_f32_e32 vcc, s3, v53
	s_nop 1
	v_cndmask_b32_e32 v1, v0, v53, vcc
.LBB7_24:
	s_or_b64 exec, exec, s[0:1]
	v_lshl_add_u64 v[36:37], v[42:43], 0, s[14:15]
	v_mul_f32_e32 v14, v1, v14
	global_load_dword v0, v[36:37], off
	s_mul_i32 s4, s21, s2
	s_mov_b32 s2, 0x3fb8aa3b
	v_mul_f32_e32 v15, v1, v15
	v_mul_f32_e32 v36, 0x3fb8aa3b, v14
	;; [unrolled: 1-line block ×4, first 2 shown]
	v_fma_f32 v44, v14, s2, -v36
	v_rndne_f32_e32 v45, v36
	v_mul_f32_e32 v17, v1, v17
	v_mul_f32_e32 v38, 0x3fb8aa3b, v16
	v_fma_f32 v46, v15, s2, -v37
	v_rndne_f32_e32 v47, v37
	v_fmac_f32_e32 v44, 0x32a5705f, v14
	v_sub_f32_e32 v36, v36, v45
	v_mul_f32_e32 v10, v1, v10
	v_mul_f32_e32 v39, 0x3fb8aa3b, v17
	v_fma_f32 v48, v16, s2, -v38
	v_rndne_f32_e32 v49, v38
	v_fmac_f32_e32 v46, 0x32a5705f, v15
	v_sub_f32_e32 v37, v37, v47
	v_add_f32_e32 v36, v36, v44
	v_mul_f32_e32 v43, 0x3fb8aa3b, v10
	v_fma_f32 v51, v17, s2, -v39
	v_rndne_f32_e32 v52, v39
	v_cvt_i32_f32_e32 v45, v45
	v_fmac_f32_e32 v48, 0x32a5705f, v16
	v_sub_f32_e32 v38, v38, v49
	v_add_f32_e32 v37, v37, v46
	v_exp_f32_e32 v36, v36
	v_fma_f32 v53, v10, s2, -v43
	v_rndne_f32_e32 v54, v43
	v_cvt_i32_f32_e32 v47, v47
	v_fmac_f32_e32 v51, 0x32a5705f, v17
	v_sub_f32_e32 v39, v39, v52
	v_add_f32_e32 v38, v38, v48
	v_exp_f32_e32 v37, v37
	v_cvt_i32_f32_e32 v49, v49
	v_fmac_f32_e32 v53, 0x32a5705f, v10
	v_sub_f32_e32 v43, v43, v54
	v_add_f32_e32 v39, v39, v51
	v_exp_f32_e32 v38, v38
	s_mov_b32 s0, 0xc2ce8ed0
	v_cvt_i32_f32_e32 v52, v52
	v_add_f32_e32 v43, v43, v53
	v_exp_f32_e32 v39, v39
	v_cvt_i32_f32_e32 v54, v54
	v_exp_f32_e32 v43, v43
	v_ldexp_f32 v36, v36, v45
	v_cmp_ngt_f32_e32 vcc, s0, v14
	v_ldexp_f32 v37, v37, v47
	v_ldexp_f32 v38, v38, v49
	v_cndmask_b32_e32 v36, 0, v36, vcc
	v_cmp_ngt_f32_e32 vcc, s0, v15
	v_ldexp_f32 v39, v39, v52
	s_mov_b32 s1, 0x42b17218
	v_cndmask_b32_e32 v37, 0, v37, vcc
	v_cmp_ngt_f32_e32 vcc, s0, v16
	v_ldexp_f32 v43, v43, v54
	v_mov_b32_e32 v42, 0x7f800000
	v_cndmask_b32_e32 v38, 0, v38, vcc
	v_cmp_ngt_f32_e32 vcc, s0, v17
	v_mul_f32_e32 v11, v1, v11
	v_mul_f32_e32 v12, v1, v12
	v_cndmask_b32_e32 v39, 0, v39, vcc
	v_cmp_ngt_f32_e32 vcc, s0, v10
	v_mul_f32_e32 v6, v1, v6
	v_mul_f32_e32 v7, v1, v7
	v_cndmask_b32_e32 v43, 0, v43, vcc
	v_cmp_nlt_f32_e32 vcc, s1, v14
	v_mul_f32_e32 v14, 0x3fb8aa3b, v11
	v_mul_f32_e32 v8, v1, v8
	v_cndmask_b32_e32 v54, v42, v36, vcc
	v_cmp_nlt_f32_e32 vcc, s1, v15
	v_fma_f32 v15, v11, s2, -v14
	v_fmac_f32_e32 v15, 0x32a5705f, v11
	v_cndmask_b32_e32 v55, v42, v37, vcc
	v_cmp_nlt_f32_e32 vcc, s1, v16
	v_rndne_f32_e32 v16, v14
	v_sub_f32_e32 v14, v14, v16
	v_add_f32_e32 v14, v14, v15
	v_exp_f32_e32 v44, v14
	v_cvt_i32_f32_e32 v45, v16
	v_cndmask_b32_e32 v56, v42, v38, vcc
	v_cmp_nlt_f32_e32 vcc, s1, v17
	v_mul_f32_e32 v2, v1, v2
	v_mul_f32_e32 v3, v1, v3
	v_cndmask_b32_e32 v57, v42, v39, vcc
	v_cmp_nlt_f32_e32 vcc, s1, v10
	v_ldexp_f32 v10, v44, v45
	v_mul_f32_e32 v4, v1, v4
	v_cndmask_b32_e32 v58, v42, v43, vcc
	v_mul_f32_e32 v43, 0x3fb8aa3b, v12
	v_fma_f32 v44, v12, s2, -v43
	v_rndne_f32_e32 v45, v43
	v_fmac_f32_e32 v44, 0x32a5705f, v12
	v_sub_f32_e32 v43, v43, v45
	v_add_f32_e32 v43, v43, v44
	v_exp_f32_e32 v43, v43
	v_cvt_i32_f32_e32 v44, v45
	v_cmp_ngt_f32_e32 vcc, s0, v11
	s_waitcnt vmcnt(0)
	v_mul_f32_e32 v0, v1, v0
	v_mov_b32_e32 v50, 0
	v_cndmask_b32_e32 v10, 0, v10, vcc
	v_cmp_nlt_f32_e32 vcc, s1, v11
	v_mul_f32_e32 v11, v1, v13
	v_mul_f32_e32 v13, 0x3fb8aa3b, v11
	v_cndmask_b32_e32 v59, v42, v10, vcc
	v_ldexp_f32 v10, v43, v44
	v_fma_f32 v43, v11, s2, -v13
	v_rndne_f32_e32 v44, v13
	v_fmac_f32_e32 v43, 0x32a5705f, v11
	v_sub_f32_e32 v13, v13, v44
	v_add_f32_e32 v13, v13, v43
	v_exp_f32_e32 v13, v13
	v_cvt_i32_f32_e32 v43, v44
	v_cmp_ngt_f32_e32 vcc, s0, v12
	ds_read_b128 v[14:17], v50 offset:64
	ds_read_b128 v[36:39], v50 offset:80
	v_cndmask_b32_e32 v10, 0, v10, vcc
	v_cmp_nlt_f32_e32 vcc, s1, v12
	v_mul_f32_e32 v12, 0x3fb8aa3b, v6
	s_add_u32 s3, s18, s8
	v_cndmask_b32_e32 v60, v42, v10, vcc
	v_ldexp_f32 v10, v13, v43
	v_fma_f32 v13, v6, s2, -v12
	v_rndne_f32_e32 v43, v12
	v_fmac_f32_e32 v13, 0x32a5705f, v6
	v_sub_f32_e32 v12, v12, v43
	v_add_f32_e32 v12, v12, v13
	v_exp_f32_e32 v12, v12
	v_cvt_i32_f32_e32 v13, v43
	v_cmp_ngt_f32_e32 vcc, s0, v11
	s_addc_u32 s5, s19, s9
	s_add_u32 s3, s3, s4
	v_cndmask_b32_e32 v10, 0, v10, vcc
	v_cmp_nlt_f32_e32 vcc, s1, v11
	v_mul_f32_e32 v11, 0x3fb8aa3b, v7
	s_addc_u32 s4, s5, 0
	v_cndmask_b32_e32 v61, v42, v10, vcc
	v_ldexp_f32 v10, v12, v13
	v_fma_f32 v12, v7, s2, -v11
	v_rndne_f32_e32 v13, v11
	v_fmac_f32_e32 v12, 0x32a5705f, v7
	v_sub_f32_e32 v11, v11, v13
	v_add_f32_e32 v11, v11, v12
	v_exp_f32_e32 v11, v11
	v_cvt_i32_f32_e32 v12, v13
	v_cmp_ngt_f32_e32 vcc, s0, v6
	s_nop 1
	v_cndmask_b32_e32 v10, 0, v10, vcc
	v_cmp_nlt_f32_e32 vcc, s1, v6
	v_ldexp_f32 v6, v11, v12
	s_nop 0
	v_cndmask_b32_e32 v62, v42, v10, vcc
	v_mul_f32_e32 v10, 0x3fb8aa3b, v8
	v_fma_f32 v11, v8, s2, -v10
	v_rndne_f32_e32 v12, v10
	v_fmac_f32_e32 v11, 0x32a5705f, v8
	v_sub_f32_e32 v10, v10, v12
	v_add_f32_e32 v10, v10, v11
	v_exp_f32_e32 v10, v10
	v_cvt_i32_f32_e32 v11, v12
	v_cmp_ngt_f32_e32 vcc, s0, v7
	s_nop 1
	v_cndmask_b32_e32 v6, 0, v6, vcc
	v_cmp_nlt_f32_e32 vcc, s1, v7
	v_mul_f32_e32 v7, v1, v9
	v_mul_f32_e32 v9, 0x3fb8aa3b, v7
	v_cndmask_b32_e32 v63, v42, v6, vcc
	v_ldexp_f32 v6, v10, v11
	v_fma_f32 v10, v7, s2, -v9
	v_rndne_f32_e32 v11, v9
	v_fmac_f32_e32 v10, 0x32a5705f, v7
	v_sub_f32_e32 v9, v9, v11
	v_add_f32_e32 v9, v9, v10
	v_exp_f32_e32 v9, v9
	v_cvt_i32_f32_e32 v10, v11
	v_cmp_ngt_f32_e32 vcc, s0, v8
	v_mul_f32_e32 v1, v1, v5
	s_nop 0
	v_cndmask_b32_e32 v6, 0, v6, vcc
	v_cmp_nlt_f32_e32 vcc, s1, v8
	v_mul_f32_e32 v8, 0x3fb8aa3b, v2
	s_nop 0
	v_cndmask_b32_e32 v64, v42, v6, vcc
	v_ldexp_f32 v6, v9, v10
	v_fma_f32 v9, v2, s2, -v8
	v_rndne_f32_e32 v10, v8
	v_fmac_f32_e32 v9, 0x32a5705f, v2
	v_sub_f32_e32 v8, v8, v10
	v_add_f32_e32 v8, v8, v9
	v_exp_f32_e32 v8, v8
	v_cvt_i32_f32_e32 v9, v10
	v_cmp_ngt_f32_e32 vcc, s0, v7
	s_nop 1
	v_cndmask_b32_e32 v6, 0, v6, vcc
	v_cmp_nlt_f32_e32 vcc, s1, v7
	v_mul_f32_e32 v7, 0x3fb8aa3b, v3
	s_nop 0
	v_cndmask_b32_e32 v65, v42, v6, vcc
	v_ldexp_f32 v6, v8, v9
	v_fma_f32 v8, v3, s2, -v7
	v_rndne_f32_e32 v9, v7
	v_fmac_f32_e32 v8, 0x32a5705f, v3
	v_sub_f32_e32 v7, v7, v9
	v_add_f32_e32 v7, v7, v8
	v_exp_f32_e32 v43, v7
	v_cvt_i32_f32_e32 v44, v9
	v_cmp_ngt_f32_e32 vcc, s0, v2
	s_nop 1
	v_cndmask_b32_e32 v6, 0, v6, vcc
	v_cmp_nlt_f32_e32 vcc, s1, v2
	v_ldexp_f32 v2, v43, v44
	v_mul_f32_e32 v43, 0x3fb8aa3b, v4
	v_fma_f32 v44, v4, s2, -v43
	v_rndne_f32_e32 v45, v43
	v_fmac_f32_e32 v44, 0x32a5705f, v4
	v_sub_f32_e32 v43, v43, v45
	v_add_f32_e32 v43, v43, v44
	v_exp_f32_e32 v43, v43
	v_cvt_i32_f32_e32 v44, v45
	v_cndmask_b32_e32 v66, v42, v6, vcc
	v_cmp_ngt_f32_e32 vcc, s0, v3
	ds_read_b128 v[6:9], v50 offset:96
	ds_read_b128 v[10:13], v50 offset:112
	v_cndmask_b32_e32 v2, 0, v2, vcc
	v_cmp_nlt_f32_e32 vcc, s1, v3
	v_mul_f32_e32 v3, 0x3fb8aa3b, v1
	v_fma_f32 v5, v1, s2, -v3
	v_cndmask_b32_e32 v67, v42, v2, vcc
	v_ldexp_f32 v2, v43, v44
	v_rndne_f32_e32 v43, v3
	v_fmac_f32_e32 v5, 0x32a5705f, v1
	v_sub_f32_e32 v3, v3, v43
	v_add_f32_e32 v3, v3, v5
	v_exp_f32_e32 v3, v3
	v_cvt_i32_f32_e32 v5, v43
	v_cmp_ngt_f32_e32 vcc, s0, v4
	s_nop 1
	v_cndmask_b32_e32 v2, 0, v2, vcc
	v_cmp_nlt_f32_e32 vcc, s1, v4
	s_nop 1
	v_cndmask_b32_e32 v68, v42, v2, vcc
	v_ldexp_f32 v2, v3, v5
	v_cmp_ngt_f32_e32 vcc, s0, v1
	s_nop 1
	v_cndmask_b32_e32 v2, 0, v2, vcc
	v_cmp_nlt_f32_e32 vcc, s1, v1
	v_mad_i64_i32 v[30:31], s[0:1], s10, 20, v[30:31]
	s_nop 0
	v_cndmask_b32_e32 v69, v42, v2, vcc
	ds_read_b128 v[2:5], v50
	ds_read_b128 v[42:45], v50 offset:16
	ds_read_b128 v[46:49], v50 offset:32
	;; [unrolled: 1-line block ×3, first 2 shown]
	s_add_u32 s0, s3, s36
	s_addc_u32 s1, s4, s33
	v_lshl_add_u64 v[34:35], v[34:35], 2, s[0:1]
	s_waitcnt lgkmcnt(3)
	v_pk_mul_f32 v[2:3], v[0:1], v[2:3] op_sel_hi:[0,1]
	v_pk_fma_f32 v[2:3], v[40:41], v[54:55], v[2:3]
	v_pk_mul_f32 v[4:5], v[0:1], v[4:5] op_sel_hi:[0,1]
	v_fma_f32 v40, v14, v2, 0
	v_fmac_f32_e32 v40, v15, v3
	v_pk_fma_f32 v[4:5], v[32:33], v[56:57], v[4:5]
	s_waitcnt lgkmcnt(2)
	v_pk_mul_f32 v[14:15], v[0:1], v[42:43] op_sel_hi:[0,1]
	v_fmac_f32_e32 v40, v16, v4
	v_fmac_f32_e32 v40, v17, v5
	v_pk_fma_f32 v[14:15], v[26:27], v[58:59], v[14:15]
	v_pk_mul_f32 v[16:17], v[0:1], v[44:45] op_sel_hi:[0,1]
	v_fmac_f32_e32 v40, v36, v14
	v_fmac_f32_e32 v40, v37, v15
	v_pk_fma_f32 v[16:17], v[28:29], v[60:61], v[16:17]
	s_waitcnt lgkmcnt(1)
	v_pk_mul_f32 v[26:27], v[0:1], v[46:47] op_sel_hi:[0,1]
	v_fmac_f32_e32 v40, v38, v16
	v_fmac_f32_e32 v40, v39, v17
	v_pk_fma_f32 v[22:23], v[22:23], v[62:63], v[26:27]
	s_nop 0
	v_fmac_f32_e32 v40, v6, v22
	v_fmac_f32_e32 v40, v7, v23
	v_pk_mul_f32 v[6:7], v[0:1], v[48:49] op_sel_hi:[0,1]
	v_pk_fma_f32 v[24:25], v[24:25], v[64:65], v[6:7]
	s_waitcnt lgkmcnt(0)
	v_pk_mul_f32 v[6:7], v[0:1], v[50:51] op_sel_hi:[0,1]
	v_fmac_f32_e32 v40, v8, v24
	v_fmac_f32_e32 v40, v9, v25
	v_pk_fma_f32 v[6:7], v[18:19], v[66:67], v[6:7]
	v_pk_mul_f32 v[0:1], v[0:1], v[52:53] op_sel_hi:[0,1]
	v_fmac_f32_e32 v40, v10, v6
	v_fmac_f32_e32 v40, v11, v7
	v_pk_fma_f32 v[8:9], v[20:21], v[68:69], v[0:1]
	s_nop 0
	v_fmac_f32_e32 v40, v12, v8
	v_fmac_f32_e32 v40, v13, v9
	global_store_dword v[30:31], v40, off
	s_barrier
	global_store_dwordx4 v[34:35], v[2:5], off
	global_store_dwordx4 v[34:35], v[14:17], off offset:16
	global_store_dwordx4 v[34:35], v[22:25], off offset:32
	;; [unrolled: 1-line block ×3, first 2 shown]
	s_endpgm
	.section	.rodata,"a",@progbits
	.p2align	6, 0x0
	.amdhsa_kernel _Z12ssm_scan_f32ILm128ELm16ELm6EEvPKfS1_S1_S1_S1_S1_PKiPfiiiiiiiiiiilll
		.amdhsa_group_segment_fixed_size 128
		.amdhsa_private_segment_fixed_size 0
		.amdhsa_kernarg_size 136
		.amdhsa_user_sgpr_count 2
		.amdhsa_user_sgpr_dispatch_ptr 0
		.amdhsa_user_sgpr_queue_ptr 0
		.amdhsa_user_sgpr_kernarg_segment_ptr 1
		.amdhsa_user_sgpr_dispatch_id 0
		.amdhsa_user_sgpr_kernarg_preload_length 0
		.amdhsa_user_sgpr_kernarg_preload_offset 0
		.amdhsa_user_sgpr_private_segment_size 0
		.amdhsa_uses_dynamic_stack 0
		.amdhsa_enable_private_segment 0
		.amdhsa_system_sgpr_workgroup_id_x 1
		.amdhsa_system_sgpr_workgroup_id_y 1
		.amdhsa_system_sgpr_workgroup_id_z 0
		.amdhsa_system_sgpr_workgroup_info 0
		.amdhsa_system_vgpr_workitem_id 0
		.amdhsa_next_free_vgpr 94
		.amdhsa_next_free_sgpr 37
		.amdhsa_accum_offset 96
		.amdhsa_reserve_vcc 1
		.amdhsa_float_round_mode_32 0
		.amdhsa_float_round_mode_16_64 0
		.amdhsa_float_denorm_mode_32 3
		.amdhsa_float_denorm_mode_16_64 3
		.amdhsa_dx10_clamp 1
		.amdhsa_ieee_mode 1
		.amdhsa_fp16_overflow 0
		.amdhsa_tg_split 0
		.amdhsa_exception_fp_ieee_invalid_op 0
		.amdhsa_exception_fp_denorm_src 0
		.amdhsa_exception_fp_ieee_div_zero 0
		.amdhsa_exception_fp_ieee_overflow 0
		.amdhsa_exception_fp_ieee_underflow 0
		.amdhsa_exception_fp_ieee_inexact 0
		.amdhsa_exception_int_div_zero 0
	.end_amdhsa_kernel
	.section	.text._Z12ssm_scan_f32ILm128ELm16ELm6EEvPKfS1_S1_S1_S1_S1_PKiPfiiiiiiiiiiilll,"axG",@progbits,_Z12ssm_scan_f32ILm128ELm16ELm6EEvPKfS1_S1_S1_S1_S1_PKiPfiiiiiiiiiiilll,comdat
.Lfunc_end7:
	.size	_Z12ssm_scan_f32ILm128ELm16ELm6EEvPKfS1_S1_S1_S1_S1_PKiPfiiiiiiiiiiilll, .Lfunc_end7-_Z12ssm_scan_f32ILm128ELm16ELm6EEvPKfS1_S1_S1_S1_S1_PKiPfiiiiiiiiiiilll
                                        ; -- End function
	.set _Z12ssm_scan_f32ILm128ELm16ELm6EEvPKfS1_S1_S1_S1_S1_PKiPfiiiiiiiiiiilll.num_vgpr, 94
	.set _Z12ssm_scan_f32ILm128ELm16ELm6EEvPKfS1_S1_S1_S1_S1_PKiPfiiiiiiiiiiilll.num_agpr, 0
	.set _Z12ssm_scan_f32ILm128ELm16ELm6EEvPKfS1_S1_S1_S1_S1_PKiPfiiiiiiiiiiilll.numbered_sgpr, 37
	.set _Z12ssm_scan_f32ILm128ELm16ELm6EEvPKfS1_S1_S1_S1_S1_PKiPfiiiiiiiiiiilll.num_named_barrier, 0
	.set _Z12ssm_scan_f32ILm128ELm16ELm6EEvPKfS1_S1_S1_S1_S1_PKiPfiiiiiiiiiiilll.private_seg_size, 0
	.set _Z12ssm_scan_f32ILm128ELm16ELm6EEvPKfS1_S1_S1_S1_S1_PKiPfiiiiiiiiiiilll.uses_vcc, 1
	.set _Z12ssm_scan_f32ILm128ELm16ELm6EEvPKfS1_S1_S1_S1_S1_PKiPfiiiiiiiiiiilll.uses_flat_scratch, 0
	.set _Z12ssm_scan_f32ILm128ELm16ELm6EEvPKfS1_S1_S1_S1_S1_PKiPfiiiiiiiiiiilll.has_dyn_sized_stack, 0
	.set _Z12ssm_scan_f32ILm128ELm16ELm6EEvPKfS1_S1_S1_S1_S1_PKiPfiiiiiiiiiiilll.has_recursion, 0
	.set _Z12ssm_scan_f32ILm128ELm16ELm6EEvPKfS1_S1_S1_S1_S1_PKiPfiiiiiiiiiiilll.has_indirect_call, 0
	.section	.AMDGPU.csdata,"",@progbits
; Kernel info:
; codeLenInByte = 16788
; TotalNumSgprs: 43
; NumVgprs: 94
; NumAgprs: 0
; TotalNumVgprs: 94
; ScratchSize: 0
; MemoryBound: 0
; FloatMode: 240
; IeeeMode: 1
; LDSByteSize: 128 bytes/workgroup (compile time only)
; SGPRBlocks: 5
; VGPRBlocks: 11
; NumSGPRsForWavesPerEU: 43
; NumVGPRsForWavesPerEU: 94
; AccumOffset: 96
; Occupancy: 5
; WaveLimiterHint : 1
; COMPUTE_PGM_RSRC2:SCRATCH_EN: 0
; COMPUTE_PGM_RSRC2:USER_SGPR: 2
; COMPUTE_PGM_RSRC2:TRAP_HANDLER: 0
; COMPUTE_PGM_RSRC2:TGID_X_EN: 1
; COMPUTE_PGM_RSRC2:TGID_Y_EN: 1
; COMPUTE_PGM_RSRC2:TGID_Z_EN: 0
; COMPUTE_PGM_RSRC2:TIDIG_COMP_CNT: 0
; COMPUTE_PGM_RSRC3_GFX90A:ACCUM_OFFSET: 23
; COMPUTE_PGM_RSRC3_GFX90A:TG_SPLIT: 0
	.section	.text._Z12ssm_scan_f32ILm128ELm16ELm7EEvPKfS1_S1_S1_S1_S1_PKiPfiiiiiiiiiiilll,"axG",@progbits,_Z12ssm_scan_f32ILm128ELm16ELm7EEvPKfS1_S1_S1_S1_S1_PKiPfiiiiiiiiiiilll,comdat
	.protected	_Z12ssm_scan_f32ILm128ELm16ELm7EEvPKfS1_S1_S1_S1_S1_PKiPfiiiiiiiiiiilll ; -- Begin function _Z12ssm_scan_f32ILm128ELm16ELm7EEvPKfS1_S1_S1_S1_S1_PKiPfiiiiiiiiiiilll
	.globl	_Z12ssm_scan_f32ILm128ELm16ELm7EEvPKfS1_S1_S1_S1_S1_PKiPfiiiiiiiiiiilll
	.p2align	8
	.type	_Z12ssm_scan_f32ILm128ELm16ELm7EEvPKfS1_S1_S1_S1_S1_PKiPfiiiiiiiiiiilll,@function
_Z12ssm_scan_f32ILm128ELm16ELm7EEvPKfS1_S1_S1_S1_S1_PKiPfiiiiiiiiiiilll: ; @_Z12ssm_scan_f32ILm128ELm16ELm7EEvPKfS1_S1_S1_S1_S1_PKiPfiiiiiiiiiiilll
; %bb.0:
	s_load_dwordx16 s[4:19], s[0:1], 0x0
	s_load_dwordx8 s[20:27], s[0:1], 0x40
	s_mov_b32 s34, s3
	s_mov_b32 s3, 0
	s_lshl_b64 s[28:29], s[2:3], 2
	s_waitcnt lgkmcnt(0)
	s_add_u32 s16, s16, s28
	s_addc_u32 s17, s17, s29
	s_load_dword s16, s[16:17], 0x0
	v_mov_b32_e32 v35, 0
	s_mov_b32 s35, s3
	v_cmp_gt_u32_e32 vcc, 16, v0
	v_mov_b32_e32 v1, v35
	s_waitcnt lgkmcnt(0)
	s_mul_i32 s16, s16, s21
	s_ashr_i32 s17, s16, 31
	s_add_u32 s4, s4, s16
	s_addc_u32 s5, s5, s17
	s_lshl_b32 s16, s34, 7
	s_ashr_i32 s17, s20, 31
	s_mul_i32 s17, s16, s17
	s_mul_hi_u32 s28, s16, s20
	s_add_i32 s17, s28, s17
	s_lshr_b32 s28, s34, 25
	s_mul_i32 s29, s28, s20
	s_add_i32 s33, s17, s29
	s_mul_i32 s36, s16, s20
	s_add_u32 s4, s4, s36
	s_addc_u32 s5, s5, s33
	s_ashr_i32 s17, s26, 31
	s_mul_i32 s17, s16, s17
	s_mul_hi_u32 s29, s16, s26
	s_add_i32 s17, s29, s17
	s_mul_i32 s28, s28, s26
	s_add_i32 s17, s17, s28
	s_mul_i32 s16, s16, s26
	s_add_u32 s10, s10, s16
	s_addc_u32 s11, s11, s17
	s_ashr_i32 s17, s26, 2
	s_ashr_i32 s16, s20, 2
	v_mul_lo_u32 v34, s17, v0
	v_lshl_add_u64 v[36:37], v[34:35], 2, s[10:11]
	v_mul_lo_u32 v34, s16, v0
	v_lshl_add_u64 v[38:39], v[34:35], 2, s[4:5]
	global_load_dwordx4 v[2:5], v[36:37], off offset:48
	global_load_dwordx4 v[6:9], v[36:37], off offset:32
	;; [unrolled: 1-line block ×3, first 2 shown]
	global_load_dwordx4 v[14:17], v[36:37], off
	global_load_dwordx4 v[18:21], v[38:39], off offset:48
	global_load_dwordx4 v[22:25], v[38:39], off offset:32
	;; [unrolled: 1-line block ×3, first 2 shown]
	global_load_dwordx4 v[30:33], v[38:39], off
	s_load_dwordx4 s[28:31], s[0:1], 0x60
	v_lshlrev_b32_e32 v0, 2, v0
	v_add_u32_e32 v73, 64, v0
	s_waitcnt lgkmcnt(0)
	s_mul_i32 s3, s28, s2
	s_add_u32 s4, s12, s3
	s_mul_i32 s10, s30, s2
	s_addc_u32 s5, s13, 0
	s_add_u32 s10, s14, s10
	s_addc_u32 s11, s15, 0
	v_lshl_add_u64 v[38:39], s[4:5], 0, v[0:1]
	v_lshl_add_u64 v[36:37], s[10:11], 0, v[0:1]
	s_and_saveexec_b64 s[4:5], vcc
	s_cbranch_execz .LBB8_2
; %bb.1:
	global_load_dword v40, v[38:39], off
	global_load_dword v41, v[36:37], off
	s_waitcnt vmcnt(1)
	ds_write_b32 v0, v40
	s_waitcnt vmcnt(0)
	ds_write_b32 v73, v41
.LBB8_2:
	s_or_b64 exec, exec, s[4:5]
	s_lshl_b64 s[12:13], s[34:35], 9
	s_mul_i32 s3, s25, s2
	s_add_u32 s3, s8, s3
	s_addc_u32 s4, s9, 0
	s_add_u32 s16, s3, s12
	s_addc_u32 s17, s4, s13
	s_waitcnt lgkmcnt(0)
	s_barrier
	global_load_dword v53, v0, s[16:17]
	s_mov_b32 s3, 0x41a00000
	s_waitcnt vmcnt(0)
	v_cmp_ge_f32_e64 s[4:5], s3, v53
	s_and_saveexec_b64 s[8:9], s[4:5]
	s_cbranch_execz .LBB8_4
; %bb.3:
	v_mul_f32_e32 v40, 0x3fb8aa3b, v53
	s_mov_b32 s3, 0x3fb8aa3b
	v_rndne_f32_e32 v41, v40
	v_sub_f32_e32 v42, v40, v41
	v_fma_f32 v40, v53, s3, -v40
	v_fmamk_f32 v40, v53, 0x32a5705f, v40
	v_add_f32_e32 v40, v42, v40
	v_exp_f32_e32 v40, v40
	v_cvt_i32_f32_e32 v41, v41
	s_mov_b32 s3, 0xc2ce8ed0
	v_cmp_ngt_f32_e64 s[4:5], s3, v53
	s_mov_b32 s3, 0x42b17218
	v_ldexp_f32 v40, v40, v41
	v_cndmask_b32_e64 v40, 0, v40, s[4:5]
	v_mov_b32_e32 v54, 0x7f800000
	v_cmp_nlt_f32_e64 s[4:5], s3, v53
	s_mov_b32 s3, 0x3f2aaaab
	s_mov_b32 s10, 0x7f800000
	v_cndmask_b32_e64 v55, v54, v40, s[4:5]
	v_add_f32_e32 v42, 1.0, v55
	v_add_f32_e32 v40, -1.0, v42
	v_sub_f32_e32 v41, v40, v42
	v_add_f32_e32 v41, 1.0, v41
	v_sub_f32_e32 v40, v55, v40
	v_add_f32_e32 v43, v40, v41
	v_frexp_mant_f32_e32 v44, v42
	v_cvt_f64_f32_e32 v[40:41], v42
	v_frexp_exp_i32_f64_e32 v40, v[40:41]
	v_cmp_gt_f32_e64 s[4:5], s3, v44
	s_mov_b32 s3, 0x3f317218
	s_nop 0
	v_subbrev_co_u32_e64 v48, s[4:5], 0, v40, s[4:5]
	v_sub_u32_e32 v40, 0, v48
	v_ldexp_f32 v41, v42, v40
	v_add_f32_e32 v42, -1.0, v41
	v_add_f32_e32 v44, 1.0, v41
	v_ldexp_f32 v40, v43, v40
	v_add_f32_e32 v43, 1.0, v42
	v_add_f32_e32 v45, -1.0, v44
	v_sub_f32_e32 v43, v41, v43
	v_sub_f32_e32 v41, v41, v45
	v_add_f32_e32 v43, v40, v43
	v_add_f32_e32 v40, v40, v41
	;; [unrolled: 1-line block ×3, first 2 shown]
	v_rcp_f32_e32 v51, v49
	v_sub_f32_e32 v41, v44, v49
	v_add_f32_e32 v50, v40, v41
	v_add_f32_e32 v41, v42, v43
	v_mul_f32_e32 v53, v41, v51
	v_sub_f32_e32 v40, v42, v41
	v_mul_f32_e32 v42, v49, v53
	v_fma_f32 v44, v53, v49, -v42
	v_fmac_f32_e32 v44, v53, v50
	v_add_f32_e32 v52, v43, v40
	v_add_f32_e32 v40, v42, v44
	v_sub_f32_e32 v43, v41, v40
	v_pk_add_f32 v[46:47], v[40:41], v[42:43] neg_lo:[0,1] neg_hi:[0,1]
	v_mov_b32_e32 v45, v40
	v_pk_add_f32 v[40:41], v[46:47], v[44:45] neg_lo:[0,1] neg_hi:[0,1]
	v_cmp_neq_f32_e64 s[4:5], s10, v55
	v_add_f32_e32 v41, v52, v41
	v_add_f32_e32 v40, v40, v41
	;; [unrolled: 1-line block ×3, first 2 shown]
	v_mul_f32_e32 v52, v51, v41
	v_mul_f32_e32 v42, v49, v52
	v_fma_f32 v44, v52, v49, -v42
	v_fmac_f32_e32 v44, v52, v50
	v_sub_f32_e32 v43, v43, v41
	v_add_f32_e32 v49, v40, v43
	v_add_f32_e32 v40, v42, v44
	v_sub_f32_e32 v43, v41, v40
	v_pk_add_f32 v[46:47], v[40:41], v[42:43] neg_lo:[0,1] neg_hi:[0,1]
	v_mov_b32_e32 v45, v40
	v_pk_add_f32 v[40:41], v[46:47], v[44:45] neg_lo:[0,1] neg_hi:[0,1]
	v_cvt_f32_i32_e32 v42, v48
	v_add_f32_e32 v41, v49, v41
	v_add_f32_e32 v40, v40, v41
	;; [unrolled: 1-line block ×4, first 2 shown]
	v_sub_f32_e32 v41, v43, v53
	v_mul_f32_e32 v40, v51, v40
	v_sub_f32_e32 v41, v52, v41
	v_add_f32_e32 v40, v41, v40
	v_add_f32_e32 v44, v43, v40
	v_mul_f32_e32 v46, v44, v44
	v_mov_b32_e32 v41, 0x3ecc95a3
	v_sub_f32_e32 v43, v44, v43
	v_fmac_f32_e32 v41, 0x3e9b6dac, v46
	v_sub_f32_e32 v40, v40, v43
	v_fmaak_f32 v41, v46, v41, 0x3f2aaada
	v_ldexp_f32 v47, v40, 1
	v_mul_f32_e32 v43, v44, v46
	v_mov_b32_e32 v40, 0x3f317218
	v_pk_mul_f32 v[40:41], v[42:43], v[40:41]
	v_ldexp_f32 v45, v44, 1
	v_fma_f32 v43, v42, s3, -v40
	v_fmamk_f32 v44, v42, 0xb102e308, v43
	v_pk_add_f32 v[42:43], v[40:41], v[44:45]
	v_mov_b32_e32 v46, v40
	v_sub_f32_e32 v45, v43, v45
	v_sub_f32_e32 v45, v41, v45
	v_add_f32_e32 v47, v47, v45
	v_pk_add_f32 v[40:41], v[42:43], v[40:41] neg_lo:[0,1] neg_hi:[0,1]
	v_pk_add_f32 v[48:49], v[42:43], v[46:47]
	v_mov_b32_e32 v45, v42
	v_mov_b32_e32 v41, v49
	v_pk_add_f32 v[50:51], v[44:45], v[40:41] neg_lo:[0,1] neg_hi:[0,1]
	v_pk_add_f32 v[40:41], v[44:45], v[40:41]
	v_mov_b32_e32 v46, v47
	v_pk_add_f32 v[44:45], v[40:41], v[42:43] op_sel:[1,0] op_sel_hi:[0,1] neg_lo:[0,1] neg_hi:[0,1]
	v_pk_add_f32 v[52:53], v[48:49], v[44:45] op_sel_hi:[1,0] neg_lo:[0,1] neg_hi:[0,1]
	v_mov_b32_e32 v48, v49
	v_mov_b32_e32 v49, v41
	v_pk_mov_b32 v[44:45], v[42:43], v[44:45] op_sel:[1,0]
	v_mov_b32_e32 v47, v42
	v_pk_add_f32 v[44:45], v[48:49], v[44:45] neg_lo:[0,1] neg_hi:[0,1]
	v_mov_b32_e32 v52, v50
	v_pk_add_f32 v[42:43], v[46:47], v[44:45] neg_lo:[0,1] neg_hi:[0,1]
	v_mov_b32_e32 v51, v41
	v_pk_add_f32 v[44:45], v[52:53], v[42:43]
	s_mov_b32 s3, 0x33800000
	v_pk_add_f32 v[46:47], v[44:45], v[44:45] op_sel:[0,1] op_sel_hi:[1,0]
	s_nop 0
	v_pk_add_f32 v[40:41], v[40:41], v[46:47] op_sel:[1,0] op_sel_hi:[0,1]
	v_mov_b32_e32 v45, v40
	v_pk_add_f32 v[48:49], v[44:45], v[50:51] neg_lo:[0,1] neg_hi:[0,1]
	v_mov_b32_e32 v43, v46
	v_sub_f32_e32 v41, v44, v48
	v_pk_add_f32 v[42:43], v[42:43], v[48:49] neg_lo:[0,1] neg_hi:[0,1]
	v_sub_f32_e32 v41, v50, v41
	v_add_f32_e32 v41, v42, v41
	v_add_f32_e32 v41, v41, v43
	;; [unrolled: 1-line block ×3, first 2 shown]
	v_cndmask_b32_e64 v40, v54, v40, s[4:5]
	v_cmp_gt_f32_e64 s[4:5], s3, v55
	s_nop 1
	v_cndmask_b32_e64 v53, v40, v55, s[4:5]
.LBB8_4:
	s_or_b64 exec, exec, s[8:9]
	s_load_dwordx4 s[8:11], s[0:1], 0x70
	s_mul_i32 s0, s23, s2
	v_mul_f32_e32 v50, v53, v14
	s_mov_b32 s23, 0x3fb8aa3b
	v_mul_f32_e32 v51, v53, v15
	s_waitcnt lgkmcnt(0)
	s_mul_i32 s1, s2, s11
	s_mul_hi_u32 s3, s2, s10
	s_mul_i32 s4, s2, s10
	s_add_i32 s1, s3, s1
	s_mul_hi_u32 s3, s4, 28
	s_mul_i32 s1, s1, 28
	s_add_i32 s3, s3, s1
	s_mul_i32 s4, s4, 28
	s_add_u32 s5, s18, s4
	s_addc_u32 s25, s19, s3
	s_ashr_i32 s4, s27, 2
	s_add_u32 s0, s6, s0
	s_addc_u32 s1, s7, 0
	s_add_u32 s14, s0, s12
	s_addc_u32 s15, s1, s13
	global_load_dword v52, v0, s[14:15]
	v_mul_f32_e32 v64, 0x3fb8aa3b, v50
	v_mul_f32_e32 v55, v53, v16
	;; [unrolled: 1-line block ×3, first 2 shown]
	v_fma_f32 v71, v50, s23, -v64
	v_rndne_f32_e32 v72, v64
	v_mul_f32_e32 v65, v53, v17
	v_mul_f32_e32 v68, 0x3fb8aa3b, v55
	v_fma_f32 v74, v51, s23, -v67
	v_rndne_f32_e32 v75, v67
	v_fmac_f32_e32 v71, 0x32a5705f, v50
	v_sub_f32_e32 v64, v64, v72
	v_mul_f32_e32 v69, 0x3fb8aa3b, v65
	v_fma_f32 v76, v55, s23, -v68
	v_rndne_f32_e32 v77, v68
	v_fmac_f32_e32 v74, 0x32a5705f, v51
	v_sub_f32_e32 v67, v67, v75
	v_add_f32_e32 v64, v64, v71
	v_fma_f32 v78, v65, s23, -v69
	v_rndne_f32_e32 v79, v69
	v_fmac_f32_e32 v76, 0x32a5705f, v55
	v_sub_f32_e32 v68, v68, v77
	v_cvt_i32_f32_e32 v72, v72
	v_add_f32_e32 v67, v67, v74
	v_exp_f32_e32 v64, v64
	v_fmac_f32_e32 v78, 0x32a5705f, v65
	v_sub_f32_e32 v69, v69, v79
	v_cvt_i32_f32_e32 v75, v75
	v_add_f32_e32 v68, v68, v76
	v_exp_f32_e32 v67, v67
	v_cvt_i32_f32_e32 v77, v77
	v_add_f32_e32 v69, v69, v78
	v_exp_f32_e32 v68, v68
	s_mov_b32 s3, 0xc2ce8ed0
	v_cvt_i32_f32_e32 v79, v79
	v_exp_f32_e32 v69, v69
	v_ldexp_f32 v64, v64, v72
	v_cmp_ngt_f32_e64 s[0:1], s3, v50
	v_ldexp_f32 v67, v67, v75
	v_lshl_add_u64 v[44:45], s[16:17], 0, v[0:1]
	v_cndmask_b32_e64 v64, 0, v64, s[0:1]
	v_cmp_ngt_f32_e64 s[0:1], s3, v51
	v_mov_b32_e32 v1, 0
	v_ldexp_f32 v68, v68, v77
	v_cndmask_b32_e64 v67, 0, v67, s[0:1]
	v_cmp_ngt_f32_e64 s[0:1], s3, v55
	s_mov_b32 s20, 0x42b17218
	ds_read_b128 v[40:43], v1
	ds_read_b128 v[46:49], v1 offset:16
	v_ldexp_f32 v69, v69, v79
	v_cndmask_b32_e64 v68, 0, v68, s[0:1]
	v_cmp_ngt_f32_e64 s[0:1], s3, v65
	v_mov_b32_e32 v54, 0x7f800000
	v_mul_f32_e32 v66, v53, v10
	v_cndmask_b32_e64 v69, 0, v69, s[0:1]
	v_cmp_nlt_f32_e64 s[0:1], s20, v50
	v_mul_f32_e32 v70, 0x3fb8aa3b, v66
	v_fma_f32 v80, v66, s23, -v70
	v_cndmask_b32_e64 v50, v54, v64, s[0:1]
	v_cmp_nlt_f32_e64 s[0:1], s20, v51
	v_rndne_f32_e32 v81, v70
	v_fmac_f32_e32 v80, 0x32a5705f, v66
	v_cndmask_b32_e64 v51, v54, v67, s[0:1]
	v_cmp_nlt_f32_e64 s[0:1], s20, v55
	v_sub_f32_e32 v70, v70, v81
	v_add_f32_e32 v70, v70, v80
	v_cndmask_b32_e64 v64, v54, v68, s[0:1]
	v_cmp_nlt_f32_e64 s[0:1], s20, v65
	v_cvt_i32_f32_e32 v81, v81
	v_exp_f32_e32 v70, v70
	v_cndmask_b32_e64 v65, v54, v69, s[0:1]
	v_cmp_ngt_f32_e64 s[0:1], s3, v66
	ds_read_b128 v[56:59], v1 offset:64
	ds_read_b128 v[60:63], v1 offset:80
	v_mul_f32_e32 v55, v53, v12
	s_add_u32 s16, s5, s12
	s_addc_u32 s17, s25, s13
	s_ashr_i32 s6, s29, 2
	s_ashr_i32 s5, s4, 31
	;; [unrolled: 1-line block ×3, first 2 shown]
	s_waitcnt vmcnt(0)
	v_mul_f32_e32 v52, v53, v52
	s_waitcnt lgkmcnt(3)
	v_pk_mul_f32 v[40:41], v[52:53], v[40:41] op_sel_hi:[0,1]
	v_pk_mul_f32 v[42:43], v[52:53], v[42:43] op_sel_hi:[0,1]
	v_pk_fma_f32 v[40:41], v[30:31], v[50:51], v[40:41]
	v_mul_f32_e32 v31, v53, v11
	v_pk_fma_f32 v[42:43], v[32:33], v[64:65], v[42:43]
	v_mul_f32_e32 v32, 0x3fb8aa3b, v31
	v_fma_f32 v33, v31, s23, -v32
	v_rndne_f32_e32 v51, v32
	v_fmac_f32_e32 v33, 0x32a5705f, v31
	v_sub_f32_e32 v32, v32, v51
	v_add_f32_e32 v32, v32, v33
	v_exp_f32_e32 v32, v32
	v_cvt_i32_f32_e32 v33, v51
	v_ldexp_f32 v30, v70, v81
	v_cndmask_b32_e64 v30, 0, v30, s[0:1]
	v_cmp_nlt_f32_e64 s[0:1], s20, v66
	v_ldexp_f32 v32, v32, v33
	s_waitcnt lgkmcnt(1)
	v_fma_f32 v50, v56, v40, 0
	v_cndmask_b32_e64 v30, v54, v30, s[0:1]
	v_cmp_ngt_f32_e64 s[0:1], s3, v31
	v_fmac_f32_e32 v50, v57, v41
	v_mul_f32_e32 v57, v53, v13
	v_cndmask_b32_e64 v32, 0, v32, s[0:1]
	v_cmp_nlt_f32_e64 s[0:1], s20, v31
	v_fmac_f32_e32 v50, v58, v42
	v_fmac_f32_e32 v50, v59, v43
	v_cndmask_b32_e64 v31, v54, v32, s[0:1]
	v_pk_mul_f32 v[32:33], v[52:53], v[46:47] op_sel_hi:[0,1]
	v_pk_fma_f32 v[26:27], v[26:27], v[30:31], v[32:33]
	v_mul_f32_e32 v32, 0x3fb8aa3b, v55
	v_fma_f32 v33, v55, s23, -v32
	v_rndne_f32_e32 v46, v32
	v_fmac_f32_e32 v33, 0x32a5705f, v55
	v_sub_f32_e32 v32, v32, v46
	v_add_f32_e32 v32, v32, v33
	v_cvt_i32_f32_e32 v33, v46
	v_mul_f32_e32 v46, 0x3fb8aa3b, v57
	v_fma_f32 v47, v57, s23, -v46
	v_rndne_f32_e32 v51, v46
	v_fmac_f32_e32 v47, 0x32a5705f, v57
	v_sub_f32_e32 v46, v46, v51
	v_add_f32_e32 v46, v46, v47
	v_exp_f32_e32 v46, v46
	v_cvt_i32_f32_e32 v47, v51
	v_exp_f32_e32 v32, v32
	s_waitcnt lgkmcnt(0)
	v_pk_mul_f32 v[30:31], v[60:61], v[26:27]
	v_cmp_ngt_f32_e64 s[0:1], s3, v57
	v_add_f32_e32 v30, v50, v30
	v_add_f32_e32 v58, v30, v31
	v_ldexp_f32 v30, v46, v47
	v_ldexp_f32 v56, v32, v33
	v_cndmask_b32_e64 v59, 0, v30, s[0:1]
	v_cmp_ngt_f32_e64 s[0:1], s3, v55
	v_pk_mul_f32 v[50:51], v[52:53], v[48:49] op_sel_hi:[0,1]
	ds_read_b128 v[46:49], v1 offset:32
	ds_read_b128 v[30:33], v1 offset:48
	v_cndmask_b32_e64 v56, 0, v56, s[0:1]
	v_cmp_nlt_f32_e64 s[0:1], s20, v55
	v_mul_f32_e32 v55, v53, v6
	s_waitcnt lgkmcnt(1)
	v_pk_mul_f32 v[46:47], v[52:53], v[46:47] op_sel_hi:[0,1]
	v_cndmask_b32_e64 v56, v54, v56, s[0:1]
	v_cmp_nlt_f32_e64 s[0:1], s20, v57
	s_nop 1
	v_cndmask_b32_e64 v57, v54, v59, s[0:1]
	v_pk_fma_f32 v[28:29], v[28:29], v[56:57], v[50:51]
	v_mul_f32_e32 v50, 0x3fb8aa3b, v55
	v_fma_f32 v51, v55, s23, -v50
	v_rndne_f32_e32 v56, v50
	v_fmac_f32_e32 v51, 0x32a5705f, v55
	v_sub_f32_e32 v50, v50, v56
	v_add_f32_e32 v50, v50, v51
	v_exp_f32_e32 v57, v50
	v_cvt_i32_f32_e32 v56, v56
	v_pk_mul_f32 v[50:51], v[62:63], v[28:29]
	v_cmp_ngt_f32_e64 s[0:1], s3, v55
	v_add_f32_e32 v50, v58, v50
	v_add_f32_e32 v64, v50, v51
	v_mul_f32_e32 v51, v53, v7
	v_ldexp_f32 v50, v57, v56
	v_mul_f32_e32 v56, 0x3fb8aa3b, v51
	v_fma_f32 v57, v51, s23, -v56
	v_rndne_f32_e32 v58, v56
	v_fmac_f32_e32 v57, 0x32a5705f, v51
	v_sub_f32_e32 v56, v56, v58
	v_add_f32_e32 v56, v56, v57
	v_exp_f32_e32 v56, v56
	v_cvt_i32_f32_e32 v57, v58
	v_cndmask_b32_e64 v50, 0, v50, s[0:1]
	v_cmp_nlt_f32_e64 s[0:1], s20, v55
	ds_read_b128 v[60:63], v1 offset:112
	v_ldexp_f32 v55, v56, v57
	v_cndmask_b32_e64 v50, v54, v50, s[0:1]
	v_cmp_ngt_f32_e64 s[0:1], s3, v51
	ds_read_b128 v[56:59], v1 offset:96
	s_nop 0
	v_cndmask_b32_e64 v55, 0, v55, s[0:1]
	v_cmp_nlt_f32_e64 s[0:1], s20, v51
	s_nop 1
	v_cndmask_b32_e64 v51, v54, v55, s[0:1]
	v_pk_fma_f32 v[46:47], v[22:23], v[50:51], v[46:47]
	v_mul_f32_e32 v50, v53, v8
	v_mul_f32_e32 v51, 0x3fb8aa3b, v50
	s_waitcnt lgkmcnt(0)
	v_pk_mul_f32 v[22:23], v[56:57], v[46:47]
	v_fma_f32 v55, v50, s23, -v51
	v_rndne_f32_e32 v56, v51
	v_fmac_f32_e32 v55, 0x32a5705f, v50
	v_sub_f32_e32 v51, v51, v56
	v_add_f32_e32 v51, v51, v55
	v_cvt_i32_f32_e32 v55, v56
	v_mul_f32_e32 v56, v53, v9
	v_mul_f32_e32 v57, 0x3fb8aa3b, v56
	v_add_f32_e32 v22, v64, v22
	v_fma_f32 v64, v56, s23, -v57
	v_rndne_f32_e32 v65, v57
	v_fmac_f32_e32 v64, 0x32a5705f, v56
	v_sub_f32_e32 v57, v57, v65
	v_add_f32_e32 v57, v57, v64
	v_exp_f32_e32 v57, v57
	v_cvt_i32_f32_e32 v64, v65
	v_exp_f32_e32 v51, v51
	v_add_f32_e32 v65, v22, v23
	v_pk_mul_f32 v[22:23], v[52:53], v[48:49] op_sel_hi:[0,1]
	v_ldexp_f32 v49, v57, v64
	v_cmp_ngt_f32_e64 s[0:1], s3, v56
	v_ldexp_f32 v48, v51, v55
	s_nop 0
	v_cndmask_b32_e64 v49, 0, v49, s[0:1]
	v_cmp_ngt_f32_e64 s[0:1], s3, v50
	s_nop 1
	v_cndmask_b32_e64 v48, 0, v48, s[0:1]
	v_cmp_nlt_f32_e64 s[0:1], s20, v50
	s_nop 1
	v_cndmask_b32_e64 v48, v54, v48, s[0:1]
	v_cmp_nlt_f32_e64 s[0:1], s20, v56
	s_nop 1
	v_cndmask_b32_e64 v49, v54, v49, s[0:1]
	v_pk_fma_f32 v[48:49], v[24:25], v[48:49], v[22:23]
	v_mul_f32_e32 v24, v53, v2
	v_mul_f32_e32 v22, 0x3fb8aa3b, v24
	v_fma_f32 v23, v24, s23, -v22
	v_rndne_f32_e32 v25, v22
	v_fmac_f32_e32 v23, 0x32a5705f, v24
	v_sub_f32_e32 v22, v22, v25
	v_add_f32_e32 v22, v22, v23
	v_exp_f32_e32 v50, v22
	v_cvt_i32_f32_e32 v25, v25
	v_pk_mul_f32 v[22:23], v[58:59], v[48:49]
	v_cmp_ngt_f32_e64 s[0:1], s3, v24
	v_add_f32_e32 v22, v65, v22
	v_add_f32_e32 v55, v22, v23
	v_mul_f32_e32 v23, v53, v3
	v_ldexp_f32 v22, v50, v25
	v_mul_f32_e32 v25, 0x3fb8aa3b, v23
	v_fma_f32 v50, v23, s23, -v25
	v_rndne_f32_e32 v51, v25
	v_fmac_f32_e32 v50, 0x32a5705f, v23
	v_sub_f32_e32 v25, v25, v51
	v_add_f32_e32 v25, v25, v50
	v_exp_f32_e32 v25, v25
	v_cvt_i32_f32_e32 v50, v51
	v_cndmask_b32_e64 v22, 0, v22, s[0:1]
	v_cmp_nlt_f32_e64 s[0:1], s20, v24
	v_ldexp_f32 v24, v25, v50
	s_nop 0
	v_cndmask_b32_e64 v22, v54, v22, s[0:1]
	v_cmp_ngt_f32_e64 s[0:1], s3, v23
	s_nop 1
	v_cndmask_b32_e64 v24, 0, v24, s[0:1]
	v_cmp_nlt_f32_e64 s[0:1], s20, v23
	s_nop 1
	v_cndmask_b32_e64 v23, v54, v24, s[0:1]
	v_pk_mul_f32 v[24:25], v[52:53], v[30:31] op_sel_hi:[0,1]
	v_pk_fma_f32 v[50:51], v[18:19], v[22:23], v[24:25]
	v_mul_f32_e32 v22, v53, v4
	v_mul_f32_e32 v18, 0x3fb8aa3b, v22
	v_fma_f32 v19, v22, s23, -v18
	v_rndne_f32_e32 v23, v18
	v_fmac_f32_e32 v19, 0x32a5705f, v22
	v_sub_f32_e32 v18, v18, v23
	v_add_f32_e32 v18, v18, v19
	v_exp_f32_e32 v24, v18
	v_cvt_i32_f32_e32 v23, v23
	v_pk_mul_f32 v[18:19], v[60:61], v[50:51]
	v_cmp_ngt_f32_e64 s[0:1], s3, v22
	v_add_f32_e32 v18, v55, v18
	v_add_f32_e32 v25, v18, v19
	v_mul_f32_e32 v19, v53, v5
	v_ldexp_f32 v18, v24, v23
	v_mul_f32_e32 v23, 0x3fb8aa3b, v19
	v_fma_f32 v24, v19, s23, -v23
	v_rndne_f32_e32 v30, v23
	v_fmac_f32_e32 v24, 0x32a5705f, v19
	v_sub_f32_e32 v23, v23, v30
	v_add_f32_e32 v23, v23, v24
	v_exp_f32_e32 v23, v23
	v_cvt_i32_f32_e32 v24, v30
	v_cndmask_b32_e64 v18, 0, v18, s[0:1]
	v_cmp_nlt_f32_e64 s[0:1], s20, v22
	v_ldexp_f32 v22, v23, v24
	s_nop 0
	v_cndmask_b32_e64 v18, v54, v18, s[0:1]
	v_cmp_ngt_f32_e64 s[0:1], s3, v19
	s_nop 1
	v_cndmask_b32_e64 v22, 0, v22, s[0:1]
	v_cmp_nlt_f32_e64 s[0:1], s20, v19
	s_nop 1
	v_cndmask_b32_e64 v19, v54, v22, s[0:1]
	v_pk_mul_f32 v[22:23], v[52:53], v[32:33] op_sel_hi:[0,1]
	v_pk_fma_f32 v[52:53], v[20:21], v[18:19], v[22:23]
	s_nop 0
	v_pk_mul_f32 v[18:19], v[62:63], v[52:53]
	s_nop 0
	v_add_f32_e32 v18, v25, v18
	v_add_f32_e32 v18, v18, v19
	global_store_dword v0, v18, s[16:17]
	s_barrier
	s_and_saveexec_b64 s[0:1], vcc
	s_cbranch_execz .LBB8_6
; %bb.5:
	v_lshl_add_u64 v[18:19], s[4:5], 2, v[38:39]
	global_load_dword v20, v[18:19], off
	v_lshl_add_u64 v[18:19], s[6:7], 2, v[36:37]
	global_load_dword v18, v[18:19], off
	s_waitcnt vmcnt(1)
	ds_write_b32 v0, v20
	s_waitcnt vmcnt(0)
	ds_write_b32 v73, v18
.LBB8_6:
	s_or_b64 exec, exec, s[0:1]
	s_ashr_i32 s12, s24, 2
	s_ashr_i32 s13, s12, 31
	v_lshl_add_u64 v[54:55], s[12:13], 2, v[44:45]
	s_waitcnt lgkmcnt(0)
	s_barrier
	global_load_dword v59, v[54:55], off
	s_mov_b32 s0, 0x41a00000
	v_lshl_add_u64 v[18:19], s[14:15], 0, v[0:1]
	v_lshl_add_u64 v[30:31], s[16:17], 0, v[0:1]
	s_waitcnt vmcnt(0)
	v_cmp_ge_f32_e64 s[0:1], s0, v59
	s_and_saveexec_b64 s[14:15], s[0:1]
	s_cbranch_execz .LBB8_8
; %bb.7:
	v_mul_f32_e32 v1, 0x3fb8aa3b, v59
	s_mov_b32 s0, 0x3fb8aa3b
	v_rndne_f32_e32 v20, v1
	v_sub_f32_e32 v21, v1, v20
	v_fma_f32 v1, v59, s0, -v1
	v_fmamk_f32 v1, v59, 0x32a5705f, v1
	v_add_f32_e32 v1, v21, v1
	v_exp_f32_e32 v1, v1
	v_cvt_i32_f32_e32 v20, v20
	s_mov_b32 s0, 0xc2ce8ed0
	v_cmp_ngt_f32_e64 s[0:1], s0, v59
	v_mov_b32_e32 v60, 0x7f800000
	v_ldexp_f32 v1, v1, v20
	v_cndmask_b32_e64 v1, 0, v1, s[0:1]
	s_mov_b32 s0, 0x42b17218
	v_cmp_nlt_f32_e64 s[0:1], s0, v59
	s_mov_b32 s3, 0x7f800000
	s_nop 0
	v_cndmask_b32_e64 v1, v60, v1, s[0:1]
	v_add_f32_e32 v22, 1.0, v1
	v_add_f32_e32 v20, -1.0, v22
	v_sub_f32_e32 v21, v20, v22
	v_add_f32_e32 v21, 1.0, v21
	v_sub_f32_e32 v20, v1, v20
	v_add_f32_e32 v23, v20, v21
	v_frexp_mant_f32_e32 v24, v22
	s_mov_b32 s0, 0x3f2aaaab
	v_cvt_f64_f32_e32 v[20:21], v22
	v_frexp_exp_i32_f64_e32 v20, v[20:21]
	v_cmp_gt_f32_e64 s[0:1], s0, v24
	s_nop 1
	v_subbrev_co_u32_e64 v44, s[0:1], 0, v20, s[0:1]
	v_sub_u32_e32 v20, 0, v44
	v_ldexp_f32 v21, v22, v20
	v_add_f32_e32 v22, -1.0, v21
	v_add_f32_e32 v24, 1.0, v21
	v_ldexp_f32 v20, v23, v20
	v_add_f32_e32 v23, 1.0, v22
	v_add_f32_e32 v25, -1.0, v24
	v_sub_f32_e32 v23, v21, v23
	v_sub_f32_e32 v21, v21, v25
	v_add_f32_e32 v23, v20, v23
	v_add_f32_e32 v20, v20, v21
	;; [unrolled: 1-line block ×3, first 2 shown]
	v_rcp_f32_e32 v57, v45
	v_sub_f32_e32 v21, v24, v45
	v_add_f32_e32 v56, v20, v21
	v_add_f32_e32 v21, v22, v23
	v_mul_f32_e32 v59, v21, v57
	v_sub_f32_e32 v20, v22, v21
	v_mul_f32_e32 v22, v45, v59
	v_fma_f32 v24, v59, v45, -v22
	v_fmac_f32_e32 v24, v59, v56
	v_add_f32_e32 v58, v23, v20
	v_add_f32_e32 v20, v22, v24
	v_sub_f32_e32 v23, v21, v20
	v_pk_add_f32 v[32:33], v[20:21], v[22:23] neg_lo:[0,1] neg_hi:[0,1]
	v_mov_b32_e32 v25, v20
	v_pk_add_f32 v[20:21], v[32:33], v[24:25] neg_lo:[0,1] neg_hi:[0,1]
	s_mov_b32 s0, 0x3f317218
	v_add_f32_e32 v21, v58, v21
	v_add_f32_e32 v20, v20, v21
	;; [unrolled: 1-line block ×3, first 2 shown]
	v_mul_f32_e32 v58, v57, v21
	v_mul_f32_e32 v22, v45, v58
	v_fma_f32 v24, v58, v45, -v22
	v_fmac_f32_e32 v24, v58, v56
	v_sub_f32_e32 v23, v23, v21
	v_add_f32_e32 v45, v20, v23
	v_add_f32_e32 v20, v22, v24
	v_sub_f32_e32 v23, v21, v20
	v_pk_add_f32 v[32:33], v[20:21], v[22:23] neg_lo:[0,1] neg_hi:[0,1]
	v_mov_b32_e32 v25, v20
	v_pk_add_f32 v[20:21], v[32:33], v[24:25] neg_lo:[0,1] neg_hi:[0,1]
	v_cvt_f32_i32_e32 v22, v44
	v_add_f32_e32 v21, v45, v21
	v_add_f32_e32 v20, v20, v21
	;; [unrolled: 1-line block ×4, first 2 shown]
	v_sub_f32_e32 v21, v23, v59
	v_mul_f32_e32 v20, v57, v20
	v_sub_f32_e32 v21, v58, v21
	v_add_f32_e32 v20, v21, v20
	v_add_f32_e32 v24, v23, v20
	v_mul_f32_e32 v32, v24, v24
	v_mov_b32_e32 v21, 0x3ecc95a3
	v_sub_f32_e32 v23, v24, v23
	v_fmac_f32_e32 v21, 0x3e9b6dac, v32
	v_sub_f32_e32 v20, v20, v23
	v_fmaak_f32 v21, v32, v21, 0x3f2aaada
	v_ldexp_f32 v33, v20, 1
	v_mul_f32_e32 v23, v24, v32
	v_mov_b32_e32 v20, 0x3f317218
	v_pk_mul_f32 v[20:21], v[22:23], v[20:21]
	v_ldexp_f32 v25, v24, 1
	v_fma_f32 v23, v22, s0, -v20
	v_fmamk_f32 v24, v22, 0xb102e308, v23
	v_pk_add_f32 v[22:23], v[20:21], v[24:25]
	v_mov_b32_e32 v32, v20
	v_sub_f32_e32 v25, v23, v25
	v_sub_f32_e32 v25, v21, v25
	v_add_f32_e32 v33, v33, v25
	v_pk_add_f32 v[20:21], v[22:23], v[20:21] neg_lo:[0,1] neg_hi:[0,1]
	v_pk_add_f32 v[44:45], v[22:23], v[32:33]
	v_mov_b32_e32 v25, v22
	v_mov_b32_e32 v21, v45
	v_pk_add_f32 v[56:57], v[24:25], v[20:21] neg_lo:[0,1] neg_hi:[0,1]
	v_pk_add_f32 v[20:21], v[24:25], v[20:21]
	v_mov_b32_e32 v32, v33
	v_pk_add_f32 v[24:25], v[20:21], v[22:23] op_sel:[1,0] op_sel_hi:[0,1] neg_lo:[0,1] neg_hi:[0,1]
	v_pk_add_f32 v[58:59], v[44:45], v[24:25] op_sel_hi:[1,0] neg_lo:[0,1] neg_hi:[0,1]
	v_mov_b32_e32 v44, v45
	v_mov_b32_e32 v45, v21
	v_pk_mov_b32 v[24:25], v[22:23], v[24:25] op_sel:[1,0]
	v_mov_b32_e32 v33, v22
	v_pk_add_f32 v[24:25], v[44:45], v[24:25] neg_lo:[0,1] neg_hi:[0,1]
	v_mov_b32_e32 v58, v56
	v_pk_add_f32 v[22:23], v[32:33], v[24:25] neg_lo:[0,1] neg_hi:[0,1]
	v_mov_b32_e32 v57, v21
	v_pk_add_f32 v[24:25], v[58:59], v[22:23]
	v_cmp_neq_f32_e64 s[0:1], s3, v1
	v_pk_add_f32 v[32:33], v[24:25], v[24:25] op_sel:[0,1] op_sel_hi:[1,0]
	s_nop 0
	v_pk_add_f32 v[20:21], v[20:21], v[32:33] op_sel:[1,0] op_sel_hi:[0,1]
	v_mov_b32_e32 v25, v20
	v_pk_add_f32 v[44:45], v[24:25], v[56:57] neg_lo:[0,1] neg_hi:[0,1]
	v_mov_b32_e32 v23, v32
	v_sub_f32_e32 v21, v24, v44
	v_pk_add_f32 v[22:23], v[22:23], v[44:45] neg_lo:[0,1] neg_hi:[0,1]
	v_sub_f32_e32 v21, v56, v21
	v_add_f32_e32 v21, v22, v21
	v_add_f32_e32 v21, v21, v23
	;; [unrolled: 1-line block ×3, first 2 shown]
	v_cndmask_b32_e64 v20, v60, v20, s[0:1]
	s_mov_b32 s0, 0x33800000
	v_cmp_gt_f32_e64 s[0:1], s0, v1
	s_nop 1
	v_cndmask_b32_e64 v59, v20, v1, s[0:1]
.LBB8_8:
	s_or_b64 exec, exec, s[14:15]
	s_ashr_i32 s22, s22, 2
	s_ashr_i32 s23, s22, 31
	v_lshl_add_u64 v[56:57], s[22:23], 2, v[18:19]
	global_load_dword v58, v[56:57], off
	v_mul_f32_e32 v32, v59, v14
	s_mov_b32 s15, 0x3fb8aa3b
	v_mul_f32_e32 v33, v59, v15
	v_mul_f32_e32 v79, 0x3fb8aa3b, v32
	;; [unrolled: 1-line block ×4, first 2 shown]
	v_fma_f32 v84, v32, s15, -v79
	v_rndne_f32_e32 v85, v79
	v_mul_f32_e32 v45, v59, v17
	v_mul_f32_e32 v81, 0x3fb8aa3b, v44
	v_fma_f32 v86, v33, s15, -v80
	v_rndne_f32_e32 v87, v80
	v_fmac_f32_e32 v84, 0x32a5705f, v32
	v_sub_f32_e32 v79, v79, v85
	v_mul_f32_e32 v82, 0x3fb8aa3b, v45
	v_fma_f32 v88, v44, s15, -v81
	v_rndne_f32_e32 v89, v81
	v_fmac_f32_e32 v86, 0x32a5705f, v33
	v_sub_f32_e32 v80, v80, v87
	v_add_f32_e32 v79, v79, v84
	v_fma_f32 v90, v45, s15, -v82
	v_rndne_f32_e32 v91, v82
	v_fmac_f32_e32 v88, 0x32a5705f, v44
	v_sub_f32_e32 v81, v81, v89
	v_cvt_i32_f32_e32 v85, v85
	v_add_f32_e32 v80, v80, v86
	v_exp_f32_e32 v79, v79
	v_fmac_f32_e32 v90, 0x32a5705f, v45
	v_sub_f32_e32 v82, v82, v91
	v_cvt_i32_f32_e32 v87, v87
	v_add_f32_e32 v81, v81, v88
	v_exp_f32_e32 v80, v80
	v_cvt_i32_f32_e32 v89, v89
	v_add_f32_e32 v82, v82, v90
	v_exp_f32_e32 v81, v81
	s_mov_b32 s3, 0xc2ce8ed0
	v_cvt_i32_f32_e32 v91, v91
	v_exp_f32_e32 v82, v82
	v_ldexp_f32 v79, v79, v85
	v_cmp_ngt_f32_e64 s[0:1], s3, v32
	v_ldexp_f32 v80, v80, v87
	v_ldexp_f32 v81, v81, v89
	v_cndmask_b32_e64 v79, 0, v79, s[0:1]
	v_cmp_ngt_f32_e64 s[0:1], s3, v33
	s_mov_b32 s14, 0x42b17218
	v_mov_b32_e32 v72, 0
	v_cndmask_b32_e64 v80, 0, v80, s[0:1]
	v_cmp_ngt_f32_e64 s[0:1], s3, v44
	v_ldexp_f32 v82, v82, v91
	v_mov_b32_e32 v1, 0x7f800000
	v_cndmask_b32_e64 v81, 0, v81, s[0:1]
	v_cmp_ngt_f32_e64 s[0:1], s3, v45
	ds_read_b128 v[60:63], v72
	ds_read_b128 v[64:67], v72 offset:16
	v_cndmask_b32_e64 v82, 0, v82, s[0:1]
	v_cmp_nlt_f32_e64 s[0:1], s14, v32
	v_mul_f32_e32 v78, v59, v10
	v_mul_f32_e32 v83, 0x3fb8aa3b, v78
	v_cndmask_b32_e64 v32, v1, v79, s[0:1]
	v_cmp_nlt_f32_e64 s[0:1], s14, v33
	v_fma_f32 v92, v78, s15, -v83
	v_rndne_f32_e32 v93, v83
	v_cndmask_b32_e64 v33, v1, v80, s[0:1]
	v_cmp_nlt_f32_e64 s[0:1], s14, v44
	v_fmac_f32_e32 v92, 0x32a5705f, v78
	v_sub_f32_e32 v83, v83, v93
	v_cndmask_b32_e64 v44, v1, v81, s[0:1]
	v_cmp_nlt_f32_e64 s[0:1], s14, v45
	v_add_f32_e32 v83, v83, v92
	v_exp_f32_e32 v83, v83
	v_cndmask_b32_e64 v45, v1, v82, s[0:1]
	v_cmp_ngt_f32_e64 s[0:1], s3, v78
	ds_read_b128 v[22:25], v72 offset:32
	ds_read_b128 v[18:21], v72 offset:48
	;; [unrolled: 1-line block ×4, first 2 shown]
	s_mov_b32 s16, 0
	s_mov_b32 s17, s10
	s_waitcnt vmcnt(0)
	v_mul_f32_e32 v58, v59, v58
	s_waitcnt lgkmcnt(5)
	v_pk_mul_f32 v[60:61], v[58:59], v[60:61] op_sel_hi:[0,1]
	v_pk_mul_f32 v[62:63], v[58:59], v[62:63] op_sel_hi:[0,1]
	v_pk_fma_f32 v[32:33], v[40:41], v[32:33], v[60:61]
	v_pk_fma_f32 v[40:41], v[42:43], v[44:45], v[62:63]
	v_mul_f32_e32 v43, v59, v11
	v_mul_f32_e32 v44, 0x3fb8aa3b, v43
	v_fma_f32 v45, v43, s15, -v44
	v_rndne_f32_e32 v61, v44
	v_cvt_i32_f32_e32 v42, v93
	v_fmac_f32_e32 v45, 0x32a5705f, v43
	v_sub_f32_e32 v44, v44, v61
	v_add_f32_e32 v44, v44, v45
	v_exp_f32_e32 v44, v44
	v_cvt_i32_f32_e32 v45, v61
	v_ldexp_f32 v42, v83, v42
	v_cndmask_b32_e64 v42, 0, v42, s[0:1]
	v_cmp_nlt_f32_e64 s[0:1], s14, v78
	v_ldexp_f32 v44, v44, v45
	s_waitcnt lgkmcnt(1)
	v_fma_f32 v60, v68, v32, 0
	v_cndmask_b32_e64 v42, v1, v42, s[0:1]
	v_cmp_ngt_f32_e64 s[0:1], s3, v43
	v_fmac_f32_e32 v60, v69, v33
	v_fmac_f32_e32 v60, v70, v40
	v_cndmask_b32_e64 v44, 0, v44, s[0:1]
	v_cmp_nlt_f32_e64 s[0:1], s14, v43
	v_fmac_f32_e32 v60, v71, v41
	v_pk_mul_f32 v[22:23], v[58:59], v[22:23] op_sel_hi:[0,1]
	v_cndmask_b32_e64 v43, v1, v44, s[0:1]
	v_pk_mul_f32 v[44:45], v[58:59], v[64:65] op_sel_hi:[0,1]
	v_pk_fma_f32 v[42:43], v[26:27], v[42:43], v[44:45]
	v_mul_f32_e32 v44, v59, v12
	v_mul_f32_e32 v26, 0x3fb8aa3b, v44
	v_fma_f32 v27, v44, s15, -v26
	v_rndne_f32_e32 v45, v26
	v_fmac_f32_e32 v27, 0x32a5705f, v44
	v_sub_f32_e32 v26, v26, v45
	v_add_f32_e32 v26, v26, v27
	v_exp_f32_e32 v61, v26
	v_cvt_i32_f32_e32 v45, v45
	s_waitcnt lgkmcnt(0)
	v_pk_mul_f32 v[26:27], v[74:75], v[42:43]
	v_cmp_ngt_f32_e64 s[0:1], s3, v44
	v_add_f32_e32 v26, v60, v26
	v_add_f32_e32 v60, v26, v27
	v_mul_f32_e32 v27, v59, v13
	v_ldexp_f32 v26, v61, v45
	v_mul_f32_e32 v45, 0x3fb8aa3b, v27
	v_fma_f32 v61, v27, s15, -v45
	v_rndne_f32_e32 v62, v45
	v_fmac_f32_e32 v61, 0x32a5705f, v27
	v_sub_f32_e32 v45, v45, v62
	v_add_f32_e32 v45, v45, v61
	v_exp_f32_e32 v45, v45
	v_cvt_i32_f32_e32 v61, v62
	v_cndmask_b32_e64 v26, 0, v26, s[0:1]
	v_cmp_nlt_f32_e64 s[0:1], s14, v44
	v_mul_f32_e32 v65, v59, v8
	v_ldexp_f32 v44, v45, v61
	v_cndmask_b32_e64 v26, v1, v26, s[0:1]
	v_cmp_ngt_f32_e64 s[0:1], s3, v27
	v_pk_mul_f32 v[24:25], v[58:59], v[24:25] op_sel_hi:[0,1]
	v_pk_mul_f32 v[18:19], v[58:59], v[18:19] op_sel_hi:[0,1]
	v_cndmask_b32_e64 v44, 0, v44, s[0:1]
	v_cmp_nlt_f32_e64 s[0:1], s14, v27
	v_pk_mul_f32 v[20:21], v[58:59], v[20:21] op_sel_hi:[0,1]
	s_nop 0
	v_cndmask_b32_e64 v27, v1, v44, s[0:1]
	v_pk_mul_f32 v[44:45], v[58:59], v[66:67] op_sel_hi:[0,1]
	v_pk_fma_f32 v[44:45], v[28:29], v[26:27], v[44:45]
	v_mul_f32_e32 v28, v59, v6
	v_mul_f32_e32 v26, 0x3fb8aa3b, v28
	v_fma_f32 v27, v28, s15, -v26
	v_rndne_f32_e32 v29, v26
	v_fmac_f32_e32 v27, 0x32a5705f, v28
	v_sub_f32_e32 v26, v26, v29
	v_add_f32_e32 v26, v26, v27
	v_exp_f32_e32 v61, v26
	v_cvt_i32_f32_e32 v29, v29
	v_pk_mul_f32 v[26:27], v[76:77], v[44:45]
	v_cmp_ngt_f32_e64 s[0:1], s3, v28
	v_add_f32_e32 v26, v60, v26
	v_add_f32_e32 v64, v26, v27
	v_mul_f32_e32 v27, v59, v7
	v_ldexp_f32 v26, v61, v29
	v_mul_f32_e32 v29, 0x3fb8aa3b, v27
	v_fma_f32 v60, v27, s15, -v29
	v_rndne_f32_e32 v61, v29
	v_fmac_f32_e32 v60, 0x32a5705f, v27
	v_sub_f32_e32 v29, v29, v61
	v_add_f32_e32 v29, v29, v60
	v_exp_f32_e32 v29, v29
	v_cvt_i32_f32_e32 v60, v61
	v_cndmask_b32_e64 v26, 0, v26, s[0:1]
	v_cmp_nlt_f32_e64 s[0:1], s14, v28
	v_ldexp_f32 v28, v29, v60
	s_nop 0
	v_cndmask_b32_e64 v26, v1, v26, s[0:1]
	v_cmp_ngt_f32_e64 s[0:1], s3, v27
	s_nop 1
	v_cndmask_b32_e64 v28, 0, v28, s[0:1]
	v_cmp_nlt_f32_e64 s[0:1], s14, v27
	s_nop 1
	v_cndmask_b32_e64 v27, v1, v28, s[0:1]
	v_pk_fma_f32 v[46:47], v[46:47], v[26:27], v[22:23]
	ds_read_b128 v[26:29], v72 offset:96
	v_mul_f32_e32 v22, 0x3fb8aa3b, v65
	v_fma_f32 v23, v65, s15, -v22
	v_rndne_f32_e32 v60, v22
	v_fmac_f32_e32 v23, 0x32a5705f, v65
	v_sub_f32_e32 v22, v22, v60
	v_add_f32_e32 v22, v22, v23
	v_exp_f32_e32 v66, v22
	v_cvt_i32_f32_e32 v67, v60
	ds_read_b128 v[60:63], v72 offset:112
	s_waitcnt lgkmcnt(1)
	v_pk_mul_f32 v[22:23], v[26:27], v[46:47]
	v_cmp_ngt_f32_e64 s[0:1], s3, v65
	v_add_f32_e32 v22, v64, v22
	v_add_f32_e32 v26, v22, v23
	v_mul_f32_e32 v23, v59, v9
	v_mul_f32_e32 v27, 0x3fb8aa3b, v23
	v_ldexp_f32 v22, v66, v67
	v_fma_f32 v64, v23, s15, -v27
	v_rndne_f32_e32 v66, v27
	v_fmac_f32_e32 v64, 0x32a5705f, v23
	v_sub_f32_e32 v27, v27, v66
	v_add_f32_e32 v27, v27, v64
	v_exp_f32_e32 v27, v27
	v_cvt_i32_f32_e32 v64, v66
	v_cndmask_b32_e64 v22, 0, v22, s[0:1]
	v_cmp_nlt_f32_e64 s[0:1], s14, v65
	v_ldexp_f32 v27, v27, v64
	s_nop 0
	v_cndmask_b32_e64 v22, v1, v22, s[0:1]
	v_cmp_ngt_f32_e64 s[0:1], s3, v23
	s_nop 1
	v_cndmask_b32_e64 v27, 0, v27, s[0:1]
	v_cmp_nlt_f32_e64 s[0:1], s14, v23
	s_nop 1
	v_cndmask_b32_e64 v23, v1, v27, s[0:1]
	v_pk_fma_f32 v[48:49], v[48:49], v[22:23], v[24:25]
	v_mul_f32_e32 v24, v59, v2
	v_mul_f32_e32 v22, 0x3fb8aa3b, v24
	v_fma_f32 v23, v24, s15, -v22
	v_rndne_f32_e32 v25, v22
	v_fmac_f32_e32 v23, 0x32a5705f, v24
	v_sub_f32_e32 v22, v22, v25
	v_add_f32_e32 v22, v22, v23
	v_exp_f32_e32 v27, v22
	v_cvt_i32_f32_e32 v25, v25
	v_pk_mul_f32 v[22:23], v[28:29], v[48:49]
	v_cmp_ngt_f32_e64 s[0:1], s3, v24
	v_add_f32_e32 v22, v26, v22
	v_add_f32_e32 v26, v22, v23
	v_mul_f32_e32 v23, v59, v3
	v_ldexp_f32 v22, v27, v25
	v_mul_f32_e32 v25, 0x3fb8aa3b, v23
	v_fma_f32 v27, v23, s15, -v25
	v_rndne_f32_e32 v28, v25
	v_fmac_f32_e32 v27, 0x32a5705f, v23
	v_sub_f32_e32 v25, v25, v28
	v_add_f32_e32 v25, v25, v27
	v_exp_f32_e32 v25, v25
	v_cvt_i32_f32_e32 v27, v28
	v_cndmask_b32_e64 v22, 0, v22, s[0:1]
	v_cmp_nlt_f32_e64 s[0:1], s14, v24
	v_ldexp_f32 v24, v25, v27
	s_nop 0
	v_cndmask_b32_e64 v22, v1, v22, s[0:1]
	v_cmp_ngt_f32_e64 s[0:1], s3, v23
	s_nop 1
	v_cndmask_b32_e64 v24, 0, v24, s[0:1]
	v_cmp_nlt_f32_e64 s[0:1], s14, v23
	s_nop 1
	v_cndmask_b32_e64 v23, v1, v24, s[0:1]
	v_pk_fma_f32 v[50:51], v[50:51], v[22:23], v[18:19]
	v_mul_f32_e32 v22, v59, v4
	v_mul_f32_e32 v18, 0x3fb8aa3b, v22
	v_fma_f32 v19, v22, s15, -v18
	v_rndne_f32_e32 v23, v18
	v_fmac_f32_e32 v19, 0x32a5705f, v22
	v_sub_f32_e32 v18, v18, v23
	v_add_f32_e32 v18, v18, v19
	v_exp_f32_e32 v24, v18
	v_cvt_i32_f32_e32 v23, v23
	s_waitcnt lgkmcnt(0)
	v_pk_mul_f32 v[18:19], v[60:61], v[50:51]
	v_cmp_ngt_f32_e64 s[0:1], s3, v22
	v_add_f32_e32 v18, v26, v18
	v_add_f32_e32 v25, v18, v19
	v_mul_f32_e32 v19, v59, v5
	v_ldexp_f32 v18, v24, v23
	v_mul_f32_e32 v23, 0x3fb8aa3b, v19
	v_fma_f32 v24, v19, s15, -v23
	v_rndne_f32_e32 v26, v23
	v_fmac_f32_e32 v24, 0x32a5705f, v19
	v_sub_f32_e32 v23, v23, v26
	v_add_f32_e32 v23, v23, v24
	v_exp_f32_e32 v23, v23
	v_cvt_i32_f32_e32 v24, v26
	v_cndmask_b32_e64 v18, 0, v18, s[0:1]
	v_cmp_nlt_f32_e64 s[0:1], s14, v22
	v_ldexp_f32 v22, v23, v24
	s_nop 0
	v_cndmask_b32_e64 v18, v1, v18, s[0:1]
	v_cmp_ngt_f32_e64 s[0:1], s3, v19
	s_nop 1
	v_cndmask_b32_e64 v22, 0, v22, s[0:1]
	v_cmp_nlt_f32_e64 s[0:1], s14, v19
	s_nop 1
	v_cndmask_b32_e64 v19, v1, v22, s[0:1]
	v_pk_fma_f32 v[52:53], v[52:53], v[18:19], v[20:21]
	s_ashr_i64 s[0:1], s[16:17], 30
	v_pk_mul_f32 v[18:19], v[62:63], v[52:53]
	s_nop 0
	v_add_f32_e32 v1, v25, v18
	v_add_f32_e32 v1, v1, v19
	v_lshl_add_u64 v[18:19], v[30:31], 0, s[0:1]
	global_store_dword v[18:19], v1, off
	s_barrier
	s_and_saveexec_b64 s[0:1], vcc
	s_cbranch_execz .LBB8_10
; %bb.9:
	v_lshl_add_u64 v[18:19], s[4:5], 3, v[38:39]
	global_load_dword v1, v[18:19], off
	v_lshl_add_u64 v[18:19], s[6:7], 3, v[36:37]
	global_load_dword v18, v[18:19], off
	s_waitcnt vmcnt(1)
	ds_write_b32 v0, v1
	s_waitcnt vmcnt(0)
	ds_write_b32 v73, v18
.LBB8_10:
	s_or_b64 exec, exec, s[0:1]
	s_lshl_b64 s[14:15], s[12:13], 2
	v_lshl_add_u64 v[54:55], v[54:55], 0, s[14:15]
	s_waitcnt lgkmcnt(0)
	s_barrier
	global_load_dword v1, v[54:55], off
	s_mov_b32 s0, 0x41a00000
	s_waitcnt vmcnt(0)
	v_cmp_ge_f32_e64 s[0:1], s0, v1
	s_and_saveexec_b64 s[12:13], s[0:1]
	s_cbranch_execz .LBB8_12
; %bb.11:
	v_mul_f32_e32 v18, 0x3fb8aa3b, v1
	s_mov_b32 s0, 0x3fb8aa3b
	v_rndne_f32_e32 v19, v18
	v_sub_f32_e32 v20, v18, v19
	v_fma_f32 v18, v1, s0, -v18
	v_fmamk_f32 v18, v1, 0x32a5705f, v18
	v_add_f32_e32 v18, v20, v18
	v_exp_f32_e32 v18, v18
	v_cvt_i32_f32_e32 v19, v19
	s_mov_b32 s0, 0xc2ce8ed0
	v_cmp_ngt_f32_e64 s[0:1], s0, v1
	v_mov_b32_e32 v60, 0x7f800000
	v_ldexp_f32 v18, v18, v19
	v_cndmask_b32_e64 v18, 0, v18, s[0:1]
	s_mov_b32 s0, 0x42b17218
	v_cmp_nlt_f32_e64 s[0:1], s0, v1
	s_mov_b32 s3, 0x7f800000
	s_nop 0
	v_cndmask_b32_e64 v1, v60, v18, s[0:1]
	v_add_f32_e32 v20, 1.0, v1
	v_add_f32_e32 v18, -1.0, v20
	v_sub_f32_e32 v19, v18, v20
	v_add_f32_e32 v19, 1.0, v19
	v_sub_f32_e32 v18, v1, v18
	v_add_f32_e32 v21, v18, v19
	v_frexp_mant_f32_e32 v22, v20
	s_mov_b32 s0, 0x3f2aaaab
	v_cvt_f64_f32_e32 v[18:19], v20
	v_frexp_exp_i32_f64_e32 v18, v[18:19]
	v_cmp_gt_f32_e64 s[0:1], s0, v22
	s_nop 1
	v_subbrev_co_u32_e64 v26, s[0:1], 0, v18, s[0:1]
	v_sub_u32_e32 v18, 0, v26
	v_ldexp_f32 v19, v20, v18
	v_add_f32_e32 v20, -1.0, v19
	v_add_f32_e32 v22, 1.0, v19
	v_ldexp_f32 v18, v21, v18
	v_add_f32_e32 v21, 1.0, v20
	v_add_f32_e32 v23, -1.0, v22
	v_sub_f32_e32 v21, v19, v21
	v_sub_f32_e32 v19, v19, v23
	v_add_f32_e32 v21, v18, v21
	v_add_f32_e32 v18, v18, v19
	;; [unrolled: 1-line block ×3, first 2 shown]
	v_rcp_f32_e32 v29, v27
	v_sub_f32_e32 v19, v22, v27
	v_add_f32_e32 v28, v18, v19
	v_add_f32_e32 v19, v20, v21
	v_mul_f32_e32 v59, v19, v29
	v_sub_f32_e32 v18, v20, v19
	v_mul_f32_e32 v20, v27, v59
	v_fma_f32 v22, v59, v27, -v20
	v_fmac_f32_e32 v22, v59, v28
	v_add_f32_e32 v58, v21, v18
	v_add_f32_e32 v18, v20, v22
	v_sub_f32_e32 v21, v19, v18
	v_pk_add_f32 v[24:25], v[18:19], v[20:21] neg_lo:[0,1] neg_hi:[0,1]
	v_mov_b32_e32 v23, v18
	v_pk_add_f32 v[18:19], v[24:25], v[22:23] neg_lo:[0,1] neg_hi:[0,1]
	s_mov_b32 s0, 0x3f317218
	v_add_f32_e32 v19, v58, v19
	v_add_f32_e32 v18, v18, v19
	;; [unrolled: 1-line block ×3, first 2 shown]
	v_mul_f32_e32 v58, v29, v19
	v_mul_f32_e32 v20, v27, v58
	v_fma_f32 v22, v58, v27, -v20
	v_fmac_f32_e32 v22, v58, v28
	v_sub_f32_e32 v21, v21, v19
	v_add_f32_e32 v27, v18, v21
	v_add_f32_e32 v18, v20, v22
	v_sub_f32_e32 v21, v19, v18
	v_pk_add_f32 v[24:25], v[18:19], v[20:21] neg_lo:[0,1] neg_hi:[0,1]
	v_mov_b32_e32 v23, v18
	v_pk_add_f32 v[18:19], v[24:25], v[22:23] neg_lo:[0,1] neg_hi:[0,1]
	v_cvt_f32_i32_e32 v20, v26
	v_add_f32_e32 v19, v27, v19
	v_add_f32_e32 v18, v18, v19
	;; [unrolled: 1-line block ×4, first 2 shown]
	v_sub_f32_e32 v19, v21, v59
	v_mul_f32_e32 v18, v29, v18
	v_sub_f32_e32 v19, v58, v19
	v_add_f32_e32 v18, v19, v18
	v_add_f32_e32 v22, v21, v18
	v_mul_f32_e32 v24, v22, v22
	v_mov_b32_e32 v19, 0x3ecc95a3
	v_sub_f32_e32 v21, v22, v21
	v_fmac_f32_e32 v19, 0x3e9b6dac, v24
	v_sub_f32_e32 v18, v18, v21
	v_fmaak_f32 v19, v24, v19, 0x3f2aaada
	v_ldexp_f32 v25, v18, 1
	v_mul_f32_e32 v21, v22, v24
	v_mov_b32_e32 v18, 0x3f317218
	v_pk_mul_f32 v[18:19], v[20:21], v[18:19]
	v_ldexp_f32 v23, v22, 1
	v_fma_f32 v21, v20, s0, -v18
	v_fmamk_f32 v22, v20, 0xb102e308, v21
	v_pk_add_f32 v[20:21], v[18:19], v[22:23]
	v_mov_b32_e32 v24, v18
	v_sub_f32_e32 v23, v21, v23
	v_sub_f32_e32 v23, v19, v23
	v_add_f32_e32 v25, v25, v23
	v_pk_add_f32 v[18:19], v[20:21], v[18:19] neg_lo:[0,1] neg_hi:[0,1]
	v_pk_add_f32 v[26:27], v[20:21], v[24:25]
	v_mov_b32_e32 v23, v20
	v_mov_b32_e32 v19, v27
	v_pk_add_f32 v[28:29], v[22:23], v[18:19] neg_lo:[0,1] neg_hi:[0,1]
	v_pk_add_f32 v[18:19], v[22:23], v[18:19]
	v_mov_b32_e32 v24, v25
	v_pk_add_f32 v[22:23], v[18:19], v[20:21] op_sel:[1,0] op_sel_hi:[0,1] neg_lo:[0,1] neg_hi:[0,1]
	v_pk_add_f32 v[58:59], v[26:27], v[22:23] op_sel_hi:[1,0] neg_lo:[0,1] neg_hi:[0,1]
	v_mov_b32_e32 v26, v27
	v_mov_b32_e32 v27, v19
	v_pk_mov_b32 v[22:23], v[20:21], v[22:23] op_sel:[1,0]
	v_mov_b32_e32 v25, v20
	v_pk_add_f32 v[22:23], v[26:27], v[22:23] neg_lo:[0,1] neg_hi:[0,1]
	v_mov_b32_e32 v58, v28
	v_pk_add_f32 v[20:21], v[24:25], v[22:23] neg_lo:[0,1] neg_hi:[0,1]
	v_mov_b32_e32 v29, v19
	v_pk_add_f32 v[22:23], v[58:59], v[20:21]
	v_cmp_neq_f32_e64 s[0:1], s3, v1
	v_pk_add_f32 v[24:25], v[22:23], v[22:23] op_sel:[0,1] op_sel_hi:[1,0]
	s_nop 0
	v_pk_add_f32 v[18:19], v[18:19], v[24:25] op_sel:[1,0] op_sel_hi:[0,1]
	v_mov_b32_e32 v23, v18
	v_pk_add_f32 v[26:27], v[22:23], v[28:29] neg_lo:[0,1] neg_hi:[0,1]
	v_mov_b32_e32 v21, v24
	v_sub_f32_e32 v19, v22, v26
	v_pk_add_f32 v[20:21], v[20:21], v[26:27] neg_lo:[0,1] neg_hi:[0,1]
	v_sub_f32_e32 v19, v28, v19
	v_add_f32_e32 v19, v20, v19
	v_add_f32_e32 v19, v19, v21
	;; [unrolled: 1-line block ×3, first 2 shown]
	v_cndmask_b32_e64 v18, v60, v18, s[0:1]
	s_mov_b32 s0, 0x33800000
	v_cmp_gt_f32_e64 s[0:1], s0, v1
	s_nop 1
	v_cndmask_b32_e64 v1, v18, v1, s[0:1]
.LBB8_12:
	s_or_b64 exec, exec, s[12:13]
	s_lshl_b64 s[12:13], s[22:23], 2
	v_lshl_add_u64 v[56:57], v[56:57], 0, s[12:13]
	global_load_dword v58, v[56:57], off
	v_mul_f32_e32 v72, v1, v14
	s_mov_b32 s22, 0x3fb8aa3b
	v_mul_f32_e32 v75, v1, v15
	v_mul_f32_e32 v74, 0x3fb8aa3b, v72
	;; [unrolled: 1-line block ×4, first 2 shown]
	v_fma_f32 v84, v72, s22, -v74
	v_rndne_f32_e32 v85, v74
	v_mul_f32_e32 v77, v1, v17
	v_mul_f32_e32 v81, 0x3fb8aa3b, v76
	v_fma_f32 v86, v75, s22, -v80
	v_rndne_f32_e32 v87, v80
	v_fmac_f32_e32 v84, 0x32a5705f, v72
	v_sub_f32_e32 v74, v74, v85
	v_mul_f32_e32 v82, 0x3fb8aa3b, v77
	v_fma_f32 v88, v76, s22, -v81
	v_rndne_f32_e32 v90, v81
	v_fmac_f32_e32 v86, 0x32a5705f, v75
	v_sub_f32_e32 v80, v80, v87
	v_add_f32_e32 v74, v74, v84
	v_fma_f32 v89, v77, s22, -v82
	v_rndne_f32_e32 v91, v82
	v_fmac_f32_e32 v88, 0x32a5705f, v76
	v_sub_f32_e32 v81, v81, v90
	v_cvt_i32_f32_e32 v85, v85
	v_add_f32_e32 v80, v80, v86
	v_exp_f32_e32 v74, v74
	v_fmac_f32_e32 v89, 0x32a5705f, v77
	v_cvt_i32_f32_e32 v87, v87
	v_sub_f32_e32 v82, v82, v91
	v_add_f32_e32 v81, v81, v88
	v_exp_f32_e32 v80, v80
	v_cvt_i32_f32_e32 v90, v90
	v_add_f32_e32 v82, v82, v89
	v_exp_f32_e32 v81, v81
	s_mov_b32 s3, 0xc2ce8ed0
	v_cvt_i32_f32_e32 v91, v91
	v_exp_f32_e32 v82, v82
	v_ldexp_f32 v74, v74, v85
	v_cmp_ngt_f32_e64 s[0:1], s3, v72
	v_ldexp_f32 v80, v80, v87
	v_ldexp_f32 v81, v81, v90
	v_cndmask_b32_e64 v74, 0, v74, s[0:1]
	v_cmp_ngt_f32_e64 s[0:1], s3, v75
	v_mov_b32_e32 v78, 0
	v_ldexp_f32 v82, v82, v91
	v_cndmask_b32_e64 v80, 0, v80, s[0:1]
	v_cmp_ngt_f32_e64 s[0:1], s3, v76
	v_mov_b32_e32 v59, 0x7f800000
	ds_read_b128 v[60:63], v78
	ds_read_b128 v[26:29], v78 offset:16
	ds_read_b128 v[22:25], v78 offset:32
	ds_read_b128 v[18:21], v78 offset:48
	v_cndmask_b32_e64 v81, 0, v81, s[0:1]
	v_cmp_ngt_f32_e64 s[0:1], s3, v77
	v_mul_f32_e32 v79, v1, v10
	ds_read_b128 v[64:67], v78 offset:64
	ds_read_b128 v[68:71], v78 offset:80
	v_cndmask_b32_e64 v82, 0, v82, s[0:1]
	v_cmp_nlt_f32_e64 s[0:1], s20, v72
	v_mul_f32_e32 v83, 0x3fb8aa3b, v79
	v_fma_f32 v92, v79, s22, -v83
	v_cndmask_b32_e64 v74, v59, v74, s[0:1]
	v_cmp_nlt_f32_e64 s[0:1], s20, v75
	v_rndne_f32_e32 v93, v83
	v_fmac_f32_e32 v92, 0x32a5705f, v79
	v_cndmask_b32_e64 v75, v59, v80, s[0:1]
	v_cmp_nlt_f32_e64 s[0:1], s20, v76
	v_sub_f32_e32 v83, v83, v93
	v_add_f32_e32 v83, v83, v92
	v_cndmask_b32_e64 v76, v59, v81, s[0:1]
	v_cmp_nlt_f32_e64 s[0:1], s20, v77
	v_cvt_i32_f32_e32 v93, v93
	v_exp_f32_e32 v83, v83
	v_cndmask_b32_e64 v77, v59, v82, s[0:1]
	v_cmp_ngt_f32_e64 s[0:1], s3, v79
	v_ldexp_f32 v83, v83, v93
	s_waitcnt vmcnt(0)
	v_mul_f32_e32 v58, v1, v58
	s_waitcnt lgkmcnt(5)
	v_pk_mul_f32 v[60:61], v[58:59], v[60:61] op_sel_hi:[0,1]
	v_pk_fma_f32 v[32:33], v[32:33], v[74:75], v[60:61]
	v_mul_f32_e32 v61, v1, v11
	v_pk_mul_f32 v[62:63], v[58:59], v[62:63] op_sel_hi:[0,1]
	v_mul_f32_e32 v60, 0x3fb8aa3b, v61
	v_pk_fma_f32 v[40:41], v[40:41], v[76:77], v[62:63]
	s_waitcnt lgkmcnt(1)
	v_fma_f32 v62, v64, v32, 0
	v_fma_f32 v63, v61, s22, -v60
	v_rndne_f32_e32 v64, v60
	v_fmac_f32_e32 v63, 0x32a5705f, v61
	v_sub_f32_e32 v60, v60, v64
	v_add_f32_e32 v60, v60, v63
	v_exp_f32_e32 v63, v60
	v_cvt_i32_f32_e32 v64, v64
	v_cndmask_b32_e64 v60, 0, v83, s[0:1]
	v_cmp_nlt_f32_e64 s[0:1], s20, v79
	v_pk_mul_f32 v[26:27], v[58:59], v[26:27] op_sel_hi:[0,1]
	v_ldexp_f32 v63, v63, v64
	v_cndmask_b32_e64 v60, v59, v60, s[0:1]
	v_cmp_ngt_f32_e64 s[0:1], s3, v61
	v_fmac_f32_e32 v62, v65, v33
	v_fmac_f32_e32 v62, v66, v40
	v_cndmask_b32_e64 v63, 0, v63, s[0:1]
	v_cmp_nlt_f32_e64 s[0:1], s20, v61
	v_fmac_f32_e32 v62, v67, v41
	v_pk_mul_f32 v[28:29], v[58:59], v[28:29] op_sel_hi:[0,1]
	v_cndmask_b32_e64 v61, v59, v63, s[0:1]
	v_pk_fma_f32 v[42:43], v[42:43], v[60:61], v[26:27]
	v_mul_f32_e32 v60, v1, v12
	v_mul_f32_e32 v26, 0x3fb8aa3b, v60
	v_fma_f32 v27, v60, s22, -v26
	v_rndne_f32_e32 v61, v26
	v_fmac_f32_e32 v27, 0x32a5705f, v60
	v_sub_f32_e32 v26, v26, v61
	v_add_f32_e32 v26, v26, v27
	v_exp_f32_e32 v63, v26
	v_cvt_i32_f32_e32 v61, v61
	s_waitcnt lgkmcnt(0)
	v_pk_mul_f32 v[26:27], v[68:69], v[42:43]
	v_cmp_ngt_f32_e64 s[0:1], s3, v60
	v_add_f32_e32 v26, v62, v26
	v_add_f32_e32 v62, v26, v27
	v_mul_f32_e32 v27, v1, v13
	v_ldexp_f32 v26, v63, v61
	v_mul_f32_e32 v61, 0x3fb8aa3b, v27
	v_fma_f32 v63, v27, s22, -v61
	v_rndne_f32_e32 v64, v61
	v_fmac_f32_e32 v63, 0x32a5705f, v27
	v_sub_f32_e32 v61, v61, v64
	v_add_f32_e32 v61, v61, v63
	v_exp_f32_e32 v61, v61
	v_cvt_i32_f32_e32 v63, v64
	v_cndmask_b32_e64 v26, 0, v26, s[0:1]
	v_cmp_nlt_f32_e64 s[0:1], s20, v60
	v_pk_mul_f32 v[22:23], v[58:59], v[22:23] op_sel_hi:[0,1]
	v_ldexp_f32 v60, v61, v63
	v_cndmask_b32_e64 v26, v59, v26, s[0:1]
	v_cmp_ngt_f32_e64 s[0:1], s3, v27
	v_mul_f32_e32 v65, v1, v8
	v_pk_mul_f32 v[24:25], v[58:59], v[24:25] op_sel_hi:[0,1]
	v_cndmask_b32_e64 v60, 0, v60, s[0:1]
	v_cmp_nlt_f32_e64 s[0:1], s20, v27
	v_pk_mul_f32 v[18:19], v[58:59], v[18:19] op_sel_hi:[0,1]
	v_pk_mul_f32 v[20:21], v[58:59], v[20:21] op_sel_hi:[0,1]
	v_cndmask_b32_e64 v27, v59, v60, s[0:1]
	v_pk_fma_f32 v[44:45], v[44:45], v[26:27], v[28:29]
	v_mul_f32_e32 v28, v1, v6
	v_mul_f32_e32 v26, 0x3fb8aa3b, v28
	v_fma_f32 v27, v28, s22, -v26
	v_rndne_f32_e32 v29, v26
	v_fmac_f32_e32 v27, 0x32a5705f, v28
	v_sub_f32_e32 v26, v26, v29
	v_add_f32_e32 v26, v26, v27
	v_exp_f32_e32 v60, v26
	v_cvt_i32_f32_e32 v29, v29
	v_pk_mul_f32 v[26:27], v[70:71], v[44:45]
	v_cmp_ngt_f32_e64 s[0:1], s3, v28
	v_add_f32_e32 v26, v62, v26
	v_add_f32_e32 v64, v26, v27
	v_mul_f32_e32 v27, v1, v7
	v_ldexp_f32 v26, v60, v29
	v_mul_f32_e32 v29, 0x3fb8aa3b, v27
	v_fma_f32 v60, v27, s22, -v29
	v_rndne_f32_e32 v61, v29
	v_fmac_f32_e32 v60, 0x32a5705f, v27
	v_sub_f32_e32 v29, v29, v61
	v_add_f32_e32 v29, v29, v60
	v_exp_f32_e32 v29, v29
	v_cvt_i32_f32_e32 v60, v61
	v_cndmask_b32_e64 v26, 0, v26, s[0:1]
	v_cmp_nlt_f32_e64 s[0:1], s20, v28
	v_ldexp_f32 v28, v29, v60
	s_nop 0
	v_cndmask_b32_e64 v26, v59, v26, s[0:1]
	v_cmp_ngt_f32_e64 s[0:1], s3, v27
	s_nop 1
	v_cndmask_b32_e64 v28, 0, v28, s[0:1]
	v_cmp_nlt_f32_e64 s[0:1], s20, v27
	s_nop 1
	v_cndmask_b32_e64 v27, v59, v28, s[0:1]
	v_pk_fma_f32 v[46:47], v[46:47], v[26:27], v[22:23]
	ds_read_b128 v[26:29], v78 offset:96
	v_mul_f32_e32 v22, 0x3fb8aa3b, v65
	v_fma_f32 v23, v65, s22, -v22
	v_rndne_f32_e32 v60, v22
	v_fmac_f32_e32 v23, 0x32a5705f, v65
	v_sub_f32_e32 v22, v22, v60
	v_add_f32_e32 v22, v22, v23
	v_exp_f32_e32 v66, v22
	v_cvt_i32_f32_e32 v67, v60
	ds_read_b128 v[60:63], v78 offset:112
	s_waitcnt lgkmcnt(1)
	v_pk_mul_f32 v[22:23], v[26:27], v[46:47]
	v_cmp_ngt_f32_e64 s[0:1], s3, v65
	v_add_f32_e32 v22, v64, v22
	v_add_f32_e32 v26, v22, v23
	v_mul_f32_e32 v23, v1, v9
	v_mul_f32_e32 v27, 0x3fb8aa3b, v23
	v_ldexp_f32 v22, v66, v67
	v_fma_f32 v64, v23, s22, -v27
	v_rndne_f32_e32 v66, v27
	v_fmac_f32_e32 v64, 0x32a5705f, v23
	v_sub_f32_e32 v27, v27, v66
	v_add_f32_e32 v27, v27, v64
	v_exp_f32_e32 v27, v27
	v_cvt_i32_f32_e32 v64, v66
	v_cndmask_b32_e64 v22, 0, v22, s[0:1]
	v_cmp_nlt_f32_e64 s[0:1], s20, v65
	v_ldexp_f32 v27, v27, v64
	s_nop 0
	v_cndmask_b32_e64 v22, v59, v22, s[0:1]
	v_cmp_ngt_f32_e64 s[0:1], s3, v23
	s_nop 1
	v_cndmask_b32_e64 v27, 0, v27, s[0:1]
	v_cmp_nlt_f32_e64 s[0:1], s20, v23
	s_nop 1
	v_cndmask_b32_e64 v23, v59, v27, s[0:1]
	v_pk_fma_f32 v[48:49], v[48:49], v[22:23], v[24:25]
	v_mul_f32_e32 v24, v1, v2
	v_mul_f32_e32 v22, 0x3fb8aa3b, v24
	v_fma_f32 v23, v24, s22, -v22
	v_rndne_f32_e32 v25, v22
	v_fmac_f32_e32 v23, 0x32a5705f, v24
	v_sub_f32_e32 v22, v22, v25
	v_add_f32_e32 v22, v22, v23
	v_exp_f32_e32 v27, v22
	v_cvt_i32_f32_e32 v25, v25
	v_pk_mul_f32 v[22:23], v[28:29], v[48:49]
	v_cmp_ngt_f32_e64 s[0:1], s3, v24
	v_add_f32_e32 v22, v26, v22
	v_add_f32_e32 v26, v22, v23
	v_mul_f32_e32 v23, v1, v3
	v_ldexp_f32 v22, v27, v25
	v_mul_f32_e32 v25, 0x3fb8aa3b, v23
	v_fma_f32 v27, v23, s22, -v25
	v_rndne_f32_e32 v28, v25
	v_fmac_f32_e32 v27, 0x32a5705f, v23
	v_sub_f32_e32 v25, v25, v28
	v_add_f32_e32 v25, v25, v27
	v_exp_f32_e32 v25, v25
	v_cvt_i32_f32_e32 v27, v28
	v_cndmask_b32_e64 v22, 0, v22, s[0:1]
	v_cmp_nlt_f32_e64 s[0:1], s20, v24
	v_ldexp_f32 v24, v25, v27
	s_nop 0
	v_cndmask_b32_e64 v22, v59, v22, s[0:1]
	v_cmp_ngt_f32_e64 s[0:1], s3, v23
	s_nop 1
	v_cndmask_b32_e64 v24, 0, v24, s[0:1]
	v_cmp_nlt_f32_e64 s[0:1], s20, v23
	s_nop 1
	v_cndmask_b32_e64 v23, v59, v24, s[0:1]
	v_pk_fma_f32 v[50:51], v[50:51], v[22:23], v[18:19]
	v_mul_f32_e32 v22, v1, v4
	v_mul_f32_e32 v18, 0x3fb8aa3b, v22
	v_fma_f32 v19, v22, s22, -v18
	v_rndne_f32_e32 v23, v18
	v_fmac_f32_e32 v19, 0x32a5705f, v22
	v_sub_f32_e32 v18, v18, v23
	v_add_f32_e32 v18, v18, v19
	v_exp_f32_e32 v24, v18
	v_cvt_i32_f32_e32 v23, v23
	s_waitcnt lgkmcnt(0)
	v_pk_mul_f32 v[18:19], v[60:61], v[50:51]
	v_mul_f32_e32 v1, v1, v5
	v_add_f32_e32 v18, v26, v18
	v_add_f32_e32 v25, v18, v19
	v_mul_f32_e32 v19, 0x3fb8aa3b, v1
	v_ldexp_f32 v18, v24, v23
	v_fma_f32 v23, v1, s22, -v19
	v_rndne_f32_e32 v24, v19
	v_fmac_f32_e32 v23, 0x32a5705f, v1
	v_sub_f32_e32 v19, v19, v24
	v_add_f32_e32 v19, v19, v23
	v_exp_f32_e32 v19, v19
	v_cvt_i32_f32_e32 v23, v24
	v_cmp_ngt_f32_e64 s[0:1], s3, v22
	v_ldexp_f32 v19, v19, v23
	s_nop 0
	v_cndmask_b32_e64 v18, 0, v18, s[0:1]
	v_cmp_nlt_f32_e64 s[0:1], s20, v22
	s_nop 1
	v_cndmask_b32_e64 v18, v59, v18, s[0:1]
	v_cmp_ngt_f32_e64 s[0:1], s3, v1
	s_nop 1
	v_cndmask_b32_e64 v19, 0, v19, s[0:1]
	v_cmp_nlt_f32_e64 s[0:1], s20, v1
	s_nop 1
	v_cndmask_b32_e64 v19, v59, v19, s[0:1]
	v_pk_fma_f32 v[52:53], v[52:53], v[18:19], v[20:21]
	s_ashr_i64 s[0:1], s[16:17], 29
	v_pk_mul_f32 v[18:19], v[62:63], v[52:53]
	s_nop 0
	v_add_f32_e32 v1, v25, v18
	v_add_f32_e32 v1, v1, v19
	v_lshl_add_u64 v[18:19], v[30:31], 0, s[0:1]
	global_store_dword v[18:19], v1, off
	s_barrier
	s_and_saveexec_b64 s[0:1], vcc
	s_cbranch_execz .LBB8_14
; %bb.13:
	v_mad_i64_i32 v[18:19], s[22:23], s4, 12, v[38:39]
	global_load_dword v1, v[18:19], off
	v_mad_i64_i32 v[18:19], s[22:23], s6, 12, v[36:37]
	global_load_dword v18, v[18:19], off
	s_waitcnt vmcnt(1)
	ds_write_b32 v0, v1
	s_waitcnt vmcnt(0)
	ds_write_b32 v73, v18
.LBB8_14:
	s_or_b64 exec, exec, s[0:1]
	v_lshl_add_u64 v[54:55], v[54:55], 0, s[14:15]
	s_waitcnt lgkmcnt(0)
	s_barrier
	global_load_dword v1, v[54:55], off
	s_mov_b32 s0, 0x41a00000
	s_bfe_i64 s[10:11], s[10:11], 0x200000
	s_waitcnt vmcnt(0)
	v_cmp_ge_f32_e64 s[0:1], s0, v1
	s_and_saveexec_b64 s[22:23], s[0:1]
	s_cbranch_execz .LBB8_16
; %bb.15:
	v_mul_f32_e32 v18, 0x3fb8aa3b, v1
	s_mov_b32 s0, 0x3fb8aa3b
	v_rndne_f32_e32 v19, v18
	v_sub_f32_e32 v20, v18, v19
	v_fma_f32 v18, v1, s0, -v18
	v_fmamk_f32 v18, v1, 0x32a5705f, v18
	v_add_f32_e32 v18, v20, v18
	v_exp_f32_e32 v18, v18
	v_cvt_i32_f32_e32 v19, v19
	s_mov_b32 s0, 0xc2ce8ed0
	v_cmp_ngt_f32_e64 s[0:1], s0, v1
	v_mov_b32_e32 v60, 0x7f800000
	v_ldexp_f32 v18, v18, v19
	v_cndmask_b32_e64 v18, 0, v18, s[0:1]
	s_mov_b32 s0, 0x42b17218
	v_cmp_nlt_f32_e64 s[0:1], s0, v1
	s_mov_b32 s3, 0x7f800000
	s_nop 0
	v_cndmask_b32_e64 v1, v60, v18, s[0:1]
	v_add_f32_e32 v20, 1.0, v1
	v_add_f32_e32 v18, -1.0, v20
	v_sub_f32_e32 v19, v18, v20
	v_add_f32_e32 v19, 1.0, v19
	v_sub_f32_e32 v18, v1, v18
	v_add_f32_e32 v21, v18, v19
	v_frexp_mant_f32_e32 v22, v20
	s_mov_b32 s0, 0x3f2aaaab
	v_cvt_f64_f32_e32 v[18:19], v20
	v_frexp_exp_i32_f64_e32 v18, v[18:19]
	v_cmp_gt_f32_e64 s[0:1], s0, v22
	s_nop 1
	v_subbrev_co_u32_e64 v26, s[0:1], 0, v18, s[0:1]
	v_sub_u32_e32 v18, 0, v26
	v_ldexp_f32 v19, v20, v18
	v_add_f32_e32 v20, -1.0, v19
	v_add_f32_e32 v22, 1.0, v19
	v_ldexp_f32 v18, v21, v18
	v_add_f32_e32 v21, 1.0, v20
	v_add_f32_e32 v23, -1.0, v22
	v_sub_f32_e32 v21, v19, v21
	v_sub_f32_e32 v19, v19, v23
	v_add_f32_e32 v21, v18, v21
	v_add_f32_e32 v18, v18, v19
	;; [unrolled: 1-line block ×3, first 2 shown]
	v_rcp_f32_e32 v29, v27
	v_sub_f32_e32 v19, v22, v27
	v_add_f32_e32 v28, v18, v19
	v_add_f32_e32 v19, v20, v21
	v_mul_f32_e32 v59, v19, v29
	v_sub_f32_e32 v18, v20, v19
	v_mul_f32_e32 v20, v27, v59
	v_fma_f32 v22, v59, v27, -v20
	v_fmac_f32_e32 v22, v59, v28
	v_add_f32_e32 v58, v21, v18
	v_add_f32_e32 v18, v20, v22
	v_sub_f32_e32 v21, v19, v18
	v_pk_add_f32 v[24:25], v[18:19], v[20:21] neg_lo:[0,1] neg_hi:[0,1]
	v_mov_b32_e32 v23, v18
	v_pk_add_f32 v[18:19], v[24:25], v[22:23] neg_lo:[0,1] neg_hi:[0,1]
	s_mov_b32 s0, 0x3f317218
	v_add_f32_e32 v19, v58, v19
	v_add_f32_e32 v18, v18, v19
	;; [unrolled: 1-line block ×3, first 2 shown]
	v_mul_f32_e32 v58, v29, v19
	v_mul_f32_e32 v20, v27, v58
	v_fma_f32 v22, v58, v27, -v20
	v_fmac_f32_e32 v22, v58, v28
	v_sub_f32_e32 v21, v21, v19
	v_add_f32_e32 v27, v18, v21
	v_add_f32_e32 v18, v20, v22
	v_sub_f32_e32 v21, v19, v18
	v_pk_add_f32 v[24:25], v[18:19], v[20:21] neg_lo:[0,1] neg_hi:[0,1]
	v_mov_b32_e32 v23, v18
	v_pk_add_f32 v[18:19], v[24:25], v[22:23] neg_lo:[0,1] neg_hi:[0,1]
	v_cvt_f32_i32_e32 v20, v26
	v_add_f32_e32 v19, v27, v19
	v_add_f32_e32 v18, v18, v19
	;; [unrolled: 1-line block ×4, first 2 shown]
	v_sub_f32_e32 v19, v21, v59
	v_mul_f32_e32 v18, v29, v18
	v_sub_f32_e32 v19, v58, v19
	v_add_f32_e32 v18, v19, v18
	v_add_f32_e32 v22, v21, v18
	v_mul_f32_e32 v24, v22, v22
	v_mov_b32_e32 v19, 0x3ecc95a3
	v_sub_f32_e32 v21, v22, v21
	v_fmac_f32_e32 v19, 0x3e9b6dac, v24
	v_sub_f32_e32 v18, v18, v21
	v_fmaak_f32 v19, v24, v19, 0x3f2aaada
	v_ldexp_f32 v25, v18, 1
	v_mul_f32_e32 v21, v22, v24
	v_mov_b32_e32 v18, 0x3f317218
	v_pk_mul_f32 v[18:19], v[20:21], v[18:19]
	v_ldexp_f32 v23, v22, 1
	v_fma_f32 v21, v20, s0, -v18
	v_fmamk_f32 v22, v20, 0xb102e308, v21
	v_pk_add_f32 v[20:21], v[18:19], v[22:23]
	v_mov_b32_e32 v24, v18
	v_sub_f32_e32 v23, v21, v23
	v_sub_f32_e32 v23, v19, v23
	v_add_f32_e32 v25, v25, v23
	v_pk_add_f32 v[18:19], v[20:21], v[18:19] neg_lo:[0,1] neg_hi:[0,1]
	v_pk_add_f32 v[26:27], v[20:21], v[24:25]
	v_mov_b32_e32 v23, v20
	v_mov_b32_e32 v19, v27
	v_pk_add_f32 v[28:29], v[22:23], v[18:19] neg_lo:[0,1] neg_hi:[0,1]
	v_pk_add_f32 v[18:19], v[22:23], v[18:19]
	v_mov_b32_e32 v24, v25
	v_pk_add_f32 v[22:23], v[18:19], v[20:21] op_sel:[1,0] op_sel_hi:[0,1] neg_lo:[0,1] neg_hi:[0,1]
	v_pk_add_f32 v[58:59], v[26:27], v[22:23] op_sel_hi:[1,0] neg_lo:[0,1] neg_hi:[0,1]
	v_mov_b32_e32 v26, v27
	v_mov_b32_e32 v27, v19
	v_pk_mov_b32 v[22:23], v[20:21], v[22:23] op_sel:[1,0]
	v_mov_b32_e32 v25, v20
	v_pk_add_f32 v[22:23], v[26:27], v[22:23] neg_lo:[0,1] neg_hi:[0,1]
	v_mov_b32_e32 v58, v28
	v_pk_add_f32 v[20:21], v[24:25], v[22:23] neg_lo:[0,1] neg_hi:[0,1]
	v_mov_b32_e32 v29, v19
	v_pk_add_f32 v[22:23], v[58:59], v[20:21]
	v_cmp_neq_f32_e64 s[0:1], s3, v1
	v_pk_add_f32 v[24:25], v[22:23], v[22:23] op_sel:[0,1] op_sel_hi:[1,0]
	s_nop 0
	v_pk_add_f32 v[18:19], v[18:19], v[24:25] op_sel:[1,0] op_sel_hi:[0,1]
	v_mov_b32_e32 v23, v18
	v_pk_add_f32 v[26:27], v[22:23], v[28:29] neg_lo:[0,1] neg_hi:[0,1]
	v_mov_b32_e32 v21, v24
	v_sub_f32_e32 v19, v22, v26
	v_pk_add_f32 v[20:21], v[20:21], v[26:27] neg_lo:[0,1] neg_hi:[0,1]
	v_sub_f32_e32 v19, v28, v19
	v_add_f32_e32 v19, v20, v19
	v_add_f32_e32 v19, v19, v21
	;; [unrolled: 1-line block ×3, first 2 shown]
	v_cndmask_b32_e64 v18, v60, v18, s[0:1]
	s_mov_b32 s0, 0x33800000
	v_cmp_gt_f32_e64 s[0:1], s0, v1
	s_nop 1
	v_cndmask_b32_e64 v1, v18, v1, s[0:1]
.LBB8_16:
	s_or_b64 exec, exec, s[22:23]
	v_lshl_add_u64 v[56:57], v[56:57], 0, s[12:13]
	global_load_dword v70, v[56:57], off
	v_mul_f32_e32 v72, v1, v14
	s_mov_b32 s22, 0x3fb8aa3b
	v_mul_f32_e32 v75, v1, v15
	v_mul_f32_e32 v74, 0x3fb8aa3b, v72
	;; [unrolled: 1-line block ×4, first 2 shown]
	v_fma_f32 v84, v72, s22, -v74
	v_rndne_f32_e32 v85, v74
	v_mul_f32_e32 v77, v1, v17
	v_mul_f32_e32 v81, 0x3fb8aa3b, v76
	v_fma_f32 v86, v75, s22, -v80
	v_rndne_f32_e32 v87, v80
	v_fmac_f32_e32 v84, 0x32a5705f, v72
	v_sub_f32_e32 v74, v74, v85
	v_mul_f32_e32 v82, 0x3fb8aa3b, v77
	v_fma_f32 v88, v76, s22, -v81
	v_rndne_f32_e32 v90, v81
	v_fmac_f32_e32 v86, 0x32a5705f, v75
	v_sub_f32_e32 v80, v80, v87
	v_add_f32_e32 v74, v74, v84
	v_fma_f32 v89, v77, s22, -v82
	v_rndne_f32_e32 v91, v82
	v_fmac_f32_e32 v88, 0x32a5705f, v76
	v_sub_f32_e32 v81, v81, v90
	v_cvt_i32_f32_e32 v85, v85
	v_add_f32_e32 v80, v80, v86
	v_exp_f32_e32 v74, v74
	v_fmac_f32_e32 v89, 0x32a5705f, v77
	v_cvt_i32_f32_e32 v87, v87
	v_sub_f32_e32 v82, v82, v91
	v_add_f32_e32 v81, v81, v88
	v_exp_f32_e32 v80, v80
	v_cvt_i32_f32_e32 v90, v90
	v_add_f32_e32 v82, v82, v89
	v_exp_f32_e32 v81, v81
	s_mov_b32 s3, 0xc2ce8ed0
	v_cvt_i32_f32_e32 v91, v91
	v_exp_f32_e32 v82, v82
	v_ldexp_f32 v74, v74, v85
	v_cmp_ngt_f32_e64 s[0:1], s3, v72
	v_ldexp_f32 v80, v80, v87
	v_ldexp_f32 v81, v81, v90
	v_cndmask_b32_e64 v74, 0, v74, s[0:1]
	v_cmp_ngt_f32_e64 s[0:1], s3, v75
	v_mov_b32_e32 v78, 0
	v_ldexp_f32 v82, v82, v91
	v_cndmask_b32_e64 v80, 0, v80, s[0:1]
	v_cmp_ngt_f32_e64 s[0:1], s3, v76
	v_mov_b32_e32 v71, 0x7f800000
	ds_read_b128 v[58:61], v78
	ds_read_b128 v[26:29], v78 offset:16
	ds_read_b128 v[22:25], v78 offset:32
	;; [unrolled: 1-line block ×3, first 2 shown]
	v_cndmask_b32_e64 v81, 0, v81, s[0:1]
	v_cmp_ngt_f32_e64 s[0:1], s3, v77
	v_mul_f32_e32 v79, v1, v10
	ds_read_b128 v[62:65], v78 offset:64
	ds_read_b128 v[66:69], v78 offset:80
	v_cndmask_b32_e64 v82, 0, v82, s[0:1]
	v_cmp_nlt_f32_e64 s[0:1], s20, v72
	v_mul_f32_e32 v83, 0x3fb8aa3b, v79
	v_fma_f32 v92, v79, s22, -v83
	v_cndmask_b32_e64 v74, v71, v74, s[0:1]
	v_cmp_nlt_f32_e64 s[0:1], s20, v75
	v_rndne_f32_e32 v93, v83
	v_fmac_f32_e32 v92, 0x32a5705f, v79
	v_cndmask_b32_e64 v75, v71, v80, s[0:1]
	v_cmp_nlt_f32_e64 s[0:1], s20, v76
	v_sub_f32_e32 v83, v83, v93
	v_add_f32_e32 v83, v83, v92
	v_cndmask_b32_e64 v76, v71, v81, s[0:1]
	v_cmp_nlt_f32_e64 s[0:1], s20, v77
	v_cvt_i32_f32_e32 v93, v93
	v_exp_f32_e32 v83, v83
	v_cndmask_b32_e64 v77, v71, v82, s[0:1]
	v_cmp_ngt_f32_e64 s[0:1], s3, v79
	v_ldexp_f32 v83, v83, v93
	s_waitcnt vmcnt(0)
	v_mul_f32_e32 v70, v1, v70
	s_waitcnt lgkmcnt(5)
	v_pk_mul_f32 v[58:59], v[70:71], v[58:59] op_sel_hi:[0,1]
	v_pk_fma_f32 v[58:59], v[32:33], v[74:75], v[58:59]
	v_mul_f32_e32 v33, v1, v11
	v_pk_mul_f32 v[60:61], v[70:71], v[60:61] op_sel_hi:[0,1]
	v_mul_f32_e32 v32, 0x3fb8aa3b, v33
	v_pk_fma_f32 v[60:61], v[40:41], v[76:77], v[60:61]
	s_waitcnt lgkmcnt(1)
	v_fma_f32 v40, v62, v58, 0
	v_fma_f32 v41, v33, s22, -v32
	v_rndne_f32_e32 v62, v32
	v_fmac_f32_e32 v41, 0x32a5705f, v33
	v_sub_f32_e32 v32, v32, v62
	v_add_f32_e32 v32, v32, v41
	v_exp_f32_e32 v41, v32
	v_cvt_i32_f32_e32 v62, v62
	v_cndmask_b32_e64 v32, 0, v83, s[0:1]
	v_cmp_nlt_f32_e64 s[0:1], s20, v79
	v_pk_mul_f32 v[26:27], v[70:71], v[26:27] op_sel_hi:[0,1]
	v_ldexp_f32 v41, v41, v62
	v_cndmask_b32_e64 v32, v71, v32, s[0:1]
	v_cmp_ngt_f32_e64 s[0:1], s3, v33
	v_fmac_f32_e32 v40, v63, v59
	v_fmac_f32_e32 v40, v64, v60
	v_cndmask_b32_e64 v41, 0, v41, s[0:1]
	v_cmp_nlt_f32_e64 s[0:1], s20, v33
	v_fmac_f32_e32 v40, v65, v61
	v_pk_mul_f32 v[28:29], v[70:71], v[28:29] op_sel_hi:[0,1]
	v_cndmask_b32_e64 v33, v71, v41, s[0:1]
	v_pk_fma_f32 v[42:43], v[42:43], v[32:33], v[26:27]
	v_mul_f32_e32 v32, v1, v12
	v_mul_f32_e32 v26, 0x3fb8aa3b, v32
	v_fma_f32 v27, v32, s22, -v26
	v_rndne_f32_e32 v33, v26
	v_fmac_f32_e32 v27, 0x32a5705f, v32
	v_sub_f32_e32 v26, v26, v33
	v_add_f32_e32 v26, v26, v27
	v_exp_f32_e32 v41, v26
	v_cvt_i32_f32_e32 v33, v33
	s_waitcnt lgkmcnt(0)
	v_pk_mul_f32 v[26:27], v[66:67], v[42:43]
	v_cmp_ngt_f32_e64 s[0:1], s3, v32
	v_add_f32_e32 v26, v40, v26
	v_add_f32_e32 v40, v26, v27
	v_mul_f32_e32 v27, v1, v13
	v_ldexp_f32 v26, v41, v33
	v_mul_f32_e32 v33, 0x3fb8aa3b, v27
	v_fma_f32 v41, v27, s22, -v33
	v_rndne_f32_e32 v62, v33
	v_fmac_f32_e32 v41, 0x32a5705f, v27
	v_sub_f32_e32 v33, v33, v62
	v_add_f32_e32 v33, v33, v41
	v_exp_f32_e32 v33, v33
	v_cvt_i32_f32_e32 v41, v62
	v_cndmask_b32_e64 v26, 0, v26, s[0:1]
	v_cmp_nlt_f32_e64 s[0:1], s20, v32
	v_pk_mul_f32 v[22:23], v[70:71], v[22:23] op_sel_hi:[0,1]
	v_ldexp_f32 v32, v33, v41
	v_cndmask_b32_e64 v26, v71, v26, s[0:1]
	v_cmp_ngt_f32_e64 s[0:1], s3, v27
	v_pk_mul_f32 v[24:25], v[70:71], v[24:25] op_sel_hi:[0,1]
	v_pk_mul_f32 v[18:19], v[70:71], v[18:19] op_sel_hi:[0,1]
	v_cndmask_b32_e64 v32, 0, v32, s[0:1]
	v_cmp_nlt_f32_e64 s[0:1], s20, v27
	v_pk_mul_f32 v[20:21], v[70:71], v[20:21] op_sel_hi:[0,1]
	s_nop 0
	v_cndmask_b32_e64 v27, v71, v32, s[0:1]
	v_pk_fma_f32 v[62:63], v[44:45], v[26:27], v[28:29]
	v_mul_f32_e32 v28, v1, v6
	v_mul_f32_e32 v26, 0x3fb8aa3b, v28
	v_fma_f32 v27, v28, s22, -v26
	v_rndne_f32_e32 v29, v26
	v_fmac_f32_e32 v27, 0x32a5705f, v28
	v_sub_f32_e32 v26, v26, v29
	v_add_f32_e32 v26, v26, v27
	v_exp_f32_e32 v32, v26
	v_cvt_i32_f32_e32 v29, v29
	v_pk_mul_f32 v[26:27], v[68:69], v[62:63]
	v_cmp_ngt_f32_e64 s[0:1], s3, v28
	v_add_f32_e32 v26, v40, v26
	v_add_f32_e32 v33, v26, v27
	v_mul_f32_e32 v27, v1, v7
	v_ldexp_f32 v26, v32, v29
	v_mul_f32_e32 v29, 0x3fb8aa3b, v27
	v_fma_f32 v32, v27, s22, -v29
	v_rndne_f32_e32 v40, v29
	v_fmac_f32_e32 v32, 0x32a5705f, v27
	v_sub_f32_e32 v29, v29, v40
	v_add_f32_e32 v29, v29, v32
	v_exp_f32_e32 v29, v29
	v_cvt_i32_f32_e32 v32, v40
	v_cndmask_b32_e64 v26, 0, v26, s[0:1]
	v_cmp_nlt_f32_e64 s[0:1], s20, v28
	v_ldexp_f32 v28, v29, v32
	s_nop 0
	v_cndmask_b32_e64 v26, v71, v26, s[0:1]
	v_cmp_ngt_f32_e64 s[0:1], s3, v27
	v_mul_f32_e32 v32, v1, v8
	s_nop 0
	v_cndmask_b32_e64 v28, 0, v28, s[0:1]
	v_cmp_nlt_f32_e64 s[0:1], s20, v27
	s_nop 1
	v_cndmask_b32_e64 v27, v71, v28, s[0:1]
	v_pk_fma_f32 v[64:65], v[46:47], v[26:27], v[22:23]
	ds_read_b128 v[26:29], v78 offset:96
	ds_read_b128 v[44:47], v78 offset:112
	v_mul_f32_e32 v22, 0x3fb8aa3b, v32
	v_fma_f32 v23, v32, s22, -v22
	v_rndne_f32_e32 v40, v22
	v_fmac_f32_e32 v23, 0x32a5705f, v32
	v_sub_f32_e32 v22, v22, v40
	v_add_f32_e32 v22, v22, v23
	v_exp_f32_e32 v41, v22
	v_cvt_i32_f32_e32 v40, v40
	s_waitcnt lgkmcnt(1)
	v_pk_mul_f32 v[22:23], v[26:27], v[64:65]
	v_cmp_ngt_f32_e64 s[0:1], s3, v32
	v_add_f32_e32 v22, v33, v22
	v_add_f32_e32 v26, v22, v23
	v_mul_f32_e32 v23, v1, v9
	v_mul_f32_e32 v27, 0x3fb8aa3b, v23
	v_ldexp_f32 v22, v41, v40
	v_fma_f32 v33, v23, s22, -v27
	v_rndne_f32_e32 v40, v27
	v_fmac_f32_e32 v33, 0x32a5705f, v23
	v_sub_f32_e32 v27, v27, v40
	v_add_f32_e32 v27, v27, v33
	v_exp_f32_e32 v27, v27
	v_cvt_i32_f32_e32 v33, v40
	v_cndmask_b32_e64 v22, 0, v22, s[0:1]
	v_cmp_nlt_f32_e64 s[0:1], s20, v32
	v_ldexp_f32 v27, v27, v33
	s_nop 0
	v_cndmask_b32_e64 v22, v71, v22, s[0:1]
	v_cmp_ngt_f32_e64 s[0:1], s3, v23
	s_nop 1
	v_cndmask_b32_e64 v27, 0, v27, s[0:1]
	v_cmp_nlt_f32_e64 s[0:1], s20, v23
	s_nop 1
	v_cndmask_b32_e64 v23, v71, v27, s[0:1]
	v_pk_fma_f32 v[66:67], v[48:49], v[22:23], v[24:25]
	v_mul_f32_e32 v24, v1, v2
	v_mul_f32_e32 v22, 0x3fb8aa3b, v24
	v_fma_f32 v23, v24, s22, -v22
	v_rndne_f32_e32 v25, v22
	v_fmac_f32_e32 v23, 0x32a5705f, v24
	v_sub_f32_e32 v22, v22, v25
	v_add_f32_e32 v22, v22, v23
	v_exp_f32_e32 v27, v22
	v_cvt_i32_f32_e32 v25, v25
	v_pk_mul_f32 v[22:23], v[28:29], v[66:67]
	v_cmp_ngt_f32_e64 s[0:1], s3, v24
	v_add_f32_e32 v22, v26, v22
	v_add_f32_e32 v26, v22, v23
	v_mul_f32_e32 v23, v1, v3
	v_ldexp_f32 v22, v27, v25
	v_mul_f32_e32 v25, 0x3fb8aa3b, v23
	v_fma_f32 v27, v23, s22, -v25
	v_rndne_f32_e32 v28, v25
	v_fmac_f32_e32 v27, 0x32a5705f, v23
	v_sub_f32_e32 v25, v25, v28
	v_add_f32_e32 v25, v25, v27
	v_exp_f32_e32 v25, v25
	v_cvt_i32_f32_e32 v27, v28
	v_cndmask_b32_e64 v22, 0, v22, s[0:1]
	v_cmp_nlt_f32_e64 s[0:1], s20, v24
	v_ldexp_f32 v24, v25, v27
	s_nop 0
	v_cndmask_b32_e64 v22, v71, v22, s[0:1]
	v_cmp_ngt_f32_e64 s[0:1], s3, v23
	s_nop 1
	v_cndmask_b32_e64 v24, 0, v24, s[0:1]
	v_cmp_nlt_f32_e64 s[0:1], s20, v23
	s_nop 1
	v_cndmask_b32_e64 v23, v71, v24, s[0:1]
	v_pk_fma_f32 v[68:69], v[50:51], v[22:23], v[18:19]
	v_mul_f32_e32 v22, v1, v4
	v_mul_f32_e32 v18, 0x3fb8aa3b, v22
	v_fma_f32 v19, v22, s22, -v18
	v_rndne_f32_e32 v23, v18
	v_fmac_f32_e32 v19, 0x32a5705f, v22
	v_sub_f32_e32 v18, v18, v23
	v_add_f32_e32 v18, v18, v19
	v_exp_f32_e32 v24, v18
	v_cvt_i32_f32_e32 v23, v23
	s_waitcnt lgkmcnt(0)
	v_pk_mul_f32 v[18:19], v[44:45], v[68:69]
	v_mul_f32_e32 v1, v1, v5
	v_add_f32_e32 v18, v26, v18
	v_add_f32_e32 v25, v18, v19
	v_mul_f32_e32 v19, 0x3fb8aa3b, v1
	v_ldexp_f32 v18, v24, v23
	v_fma_f32 v23, v1, s22, -v19
	v_rndne_f32_e32 v24, v19
	v_fmac_f32_e32 v23, 0x32a5705f, v1
	v_sub_f32_e32 v19, v19, v24
	v_add_f32_e32 v19, v19, v23
	v_exp_f32_e32 v19, v19
	v_cvt_i32_f32_e32 v23, v24
	v_cmp_ngt_f32_e64 s[0:1], s3, v22
	v_ldexp_f32 v19, v19, v23
	s_nop 0
	v_cndmask_b32_e64 v18, 0, v18, s[0:1]
	v_cmp_nlt_f32_e64 s[0:1], s20, v22
	s_nop 1
	v_cndmask_b32_e64 v18, v71, v18, s[0:1]
	v_cmp_ngt_f32_e64 s[0:1], s3, v1
	s_nop 1
	v_cndmask_b32_e64 v19, 0, v19, s[0:1]
	v_cmp_nlt_f32_e64 s[0:1], s20, v1
	s_nop 1
	v_cndmask_b32_e64 v19, v71, v19, s[0:1]
	v_pk_fma_f32 v[70:71], v[52:53], v[18:19], v[20:21]
	s_nop 0
	v_pk_mul_f32 v[18:19], v[46:47], v[70:71]
	s_nop 0
	v_add_f32_e32 v1, v25, v18
	v_add_f32_e32 v1, v1, v19
	v_mad_i64_i32 v[18:19], s[0:1], s10, 12, v[30:31]
	global_store_dword v[18:19], v1, off
	s_barrier
	s_and_saveexec_b64 s[0:1], vcc
	s_cbranch_execz .LBB8_18
; %bb.17:
	v_lshl_add_u64 v[18:19], s[4:5], 4, v[38:39]
	global_load_dword v1, v[18:19], off
	v_lshl_add_u64 v[18:19], s[6:7], 4, v[36:37]
	global_load_dword v18, v[18:19], off
	s_waitcnt vmcnt(1)
	ds_write_b32 v0, v1
	s_waitcnt vmcnt(0)
	ds_write_b32 v73, v18
.LBB8_18:
	s_or_b64 exec, exec, s[0:1]
	v_lshl_add_u64 v[32:33], v[54:55], 0, s[14:15]
	s_waitcnt lgkmcnt(0)
	s_barrier
	global_load_dword v1, v[32:33], off
	s_mov_b32 s0, 0x41a00000
	s_waitcnt vmcnt(0)
	v_cmp_ge_f32_e64 s[0:1], s0, v1
	s_and_saveexec_b64 s[22:23], s[0:1]
	s_cbranch_execz .LBB8_20
; %bb.19:
	v_mul_f32_e32 v18, 0x3fb8aa3b, v1
	s_mov_b32 s0, 0x3fb8aa3b
	v_rndne_f32_e32 v19, v18
	v_sub_f32_e32 v20, v18, v19
	v_fma_f32 v18, v1, s0, -v18
	v_fmamk_f32 v18, v1, 0x32a5705f, v18
	v_add_f32_e32 v18, v20, v18
	v_exp_f32_e32 v18, v18
	v_cvt_i32_f32_e32 v19, v19
	s_mov_b32 s0, 0xc2ce8ed0
	v_cmp_ngt_f32_e64 s[0:1], s0, v1
	v_mov_b32_e32 v44, 0x7f800000
	v_ldexp_f32 v18, v18, v19
	v_cndmask_b32_e64 v18, 0, v18, s[0:1]
	s_mov_b32 s0, 0x42b17218
	v_cmp_nlt_f32_e64 s[0:1], s0, v1
	s_mov_b32 s3, 0x7f800000
	s_nop 0
	v_cndmask_b32_e64 v1, v44, v18, s[0:1]
	v_add_f32_e32 v20, 1.0, v1
	v_add_f32_e32 v18, -1.0, v20
	v_sub_f32_e32 v19, v18, v20
	v_add_f32_e32 v19, 1.0, v19
	v_sub_f32_e32 v18, v1, v18
	v_add_f32_e32 v21, v18, v19
	v_frexp_mant_f32_e32 v22, v20
	s_mov_b32 s0, 0x3f2aaaab
	v_cvt_f64_f32_e32 v[18:19], v20
	v_frexp_exp_i32_f64_e32 v18, v[18:19]
	v_cmp_gt_f32_e64 s[0:1], s0, v22
	s_nop 1
	v_subbrev_co_u32_e64 v26, s[0:1], 0, v18, s[0:1]
	v_sub_u32_e32 v18, 0, v26
	v_ldexp_f32 v19, v20, v18
	v_add_f32_e32 v20, -1.0, v19
	v_add_f32_e32 v22, 1.0, v19
	v_ldexp_f32 v18, v21, v18
	v_add_f32_e32 v21, 1.0, v20
	v_add_f32_e32 v23, -1.0, v22
	v_sub_f32_e32 v21, v19, v21
	v_sub_f32_e32 v19, v19, v23
	v_add_f32_e32 v21, v18, v21
	v_add_f32_e32 v18, v18, v19
	;; [unrolled: 1-line block ×3, first 2 shown]
	v_rcp_f32_e32 v29, v27
	v_sub_f32_e32 v19, v22, v27
	v_add_f32_e32 v28, v18, v19
	v_add_f32_e32 v19, v20, v21
	v_mul_f32_e32 v41, v19, v29
	v_sub_f32_e32 v18, v20, v19
	v_mul_f32_e32 v20, v27, v41
	v_fma_f32 v22, v41, v27, -v20
	v_fmac_f32_e32 v22, v41, v28
	v_add_f32_e32 v40, v21, v18
	v_add_f32_e32 v18, v20, v22
	v_sub_f32_e32 v21, v19, v18
	v_pk_add_f32 v[24:25], v[18:19], v[20:21] neg_lo:[0,1] neg_hi:[0,1]
	v_mov_b32_e32 v23, v18
	v_pk_add_f32 v[18:19], v[24:25], v[22:23] neg_lo:[0,1] neg_hi:[0,1]
	s_mov_b32 s0, 0x3f317218
	v_add_f32_e32 v19, v40, v19
	v_add_f32_e32 v18, v18, v19
	;; [unrolled: 1-line block ×3, first 2 shown]
	v_mul_f32_e32 v40, v29, v19
	v_mul_f32_e32 v20, v27, v40
	v_fma_f32 v22, v40, v27, -v20
	v_fmac_f32_e32 v22, v40, v28
	v_sub_f32_e32 v21, v21, v19
	v_add_f32_e32 v27, v18, v21
	v_add_f32_e32 v18, v20, v22
	v_sub_f32_e32 v21, v19, v18
	v_pk_add_f32 v[24:25], v[18:19], v[20:21] neg_lo:[0,1] neg_hi:[0,1]
	v_mov_b32_e32 v23, v18
	v_pk_add_f32 v[18:19], v[24:25], v[22:23] neg_lo:[0,1] neg_hi:[0,1]
	v_cvt_f32_i32_e32 v20, v26
	v_add_f32_e32 v19, v27, v19
	v_add_f32_e32 v18, v18, v19
	v_add_f32_e32 v18, v21, v18
	v_add_f32_e32 v21, v41, v40
	v_sub_f32_e32 v19, v21, v41
	v_mul_f32_e32 v18, v29, v18
	v_sub_f32_e32 v19, v40, v19
	v_add_f32_e32 v18, v19, v18
	v_add_f32_e32 v22, v21, v18
	v_mul_f32_e32 v24, v22, v22
	v_mov_b32_e32 v19, 0x3ecc95a3
	v_sub_f32_e32 v21, v22, v21
	v_fmac_f32_e32 v19, 0x3e9b6dac, v24
	v_sub_f32_e32 v18, v18, v21
	v_fmaak_f32 v19, v24, v19, 0x3f2aaada
	v_ldexp_f32 v25, v18, 1
	v_mul_f32_e32 v21, v22, v24
	v_mov_b32_e32 v18, 0x3f317218
	v_pk_mul_f32 v[18:19], v[20:21], v[18:19]
	v_ldexp_f32 v23, v22, 1
	v_fma_f32 v21, v20, s0, -v18
	v_fmamk_f32 v22, v20, 0xb102e308, v21
	v_pk_add_f32 v[20:21], v[18:19], v[22:23]
	v_mov_b32_e32 v24, v18
	v_sub_f32_e32 v23, v21, v23
	v_sub_f32_e32 v23, v19, v23
	v_add_f32_e32 v25, v25, v23
	v_pk_add_f32 v[18:19], v[20:21], v[18:19] neg_lo:[0,1] neg_hi:[0,1]
	v_pk_add_f32 v[26:27], v[20:21], v[24:25]
	v_mov_b32_e32 v23, v20
	v_mov_b32_e32 v19, v27
	v_pk_add_f32 v[28:29], v[22:23], v[18:19] neg_lo:[0,1] neg_hi:[0,1]
	v_pk_add_f32 v[18:19], v[22:23], v[18:19]
	v_mov_b32_e32 v24, v25
	v_pk_add_f32 v[22:23], v[18:19], v[20:21] op_sel:[1,0] op_sel_hi:[0,1] neg_lo:[0,1] neg_hi:[0,1]
	v_pk_add_f32 v[40:41], v[26:27], v[22:23] op_sel_hi:[1,0] neg_lo:[0,1] neg_hi:[0,1]
	v_mov_b32_e32 v26, v27
	v_mov_b32_e32 v27, v19
	v_pk_mov_b32 v[22:23], v[20:21], v[22:23] op_sel:[1,0]
	v_mov_b32_e32 v25, v20
	v_pk_add_f32 v[22:23], v[26:27], v[22:23] neg_lo:[0,1] neg_hi:[0,1]
	v_mov_b32_e32 v40, v28
	v_pk_add_f32 v[20:21], v[24:25], v[22:23] neg_lo:[0,1] neg_hi:[0,1]
	v_mov_b32_e32 v29, v19
	v_pk_add_f32 v[22:23], v[40:41], v[20:21]
	v_cmp_neq_f32_e64 s[0:1], s3, v1
	v_pk_add_f32 v[24:25], v[22:23], v[22:23] op_sel:[0,1] op_sel_hi:[1,0]
	s_nop 0
	v_pk_add_f32 v[18:19], v[18:19], v[24:25] op_sel:[1,0] op_sel_hi:[0,1]
	v_mov_b32_e32 v23, v18
	v_pk_add_f32 v[26:27], v[22:23], v[28:29] neg_lo:[0,1] neg_hi:[0,1]
	v_mov_b32_e32 v21, v24
	v_sub_f32_e32 v19, v22, v26
	v_pk_add_f32 v[20:21], v[20:21], v[26:27] neg_lo:[0,1] neg_hi:[0,1]
	v_sub_f32_e32 v19, v28, v19
	v_add_f32_e32 v19, v20, v19
	v_add_f32_e32 v19, v19, v21
	v_add_f32_e32 v18, v18, v19
	v_cndmask_b32_e64 v18, v44, v18, s[0:1]
	s_mov_b32 s0, 0x33800000
	v_cmp_gt_f32_e64 s[0:1], s0, v1
	s_nop 1
	v_cndmask_b32_e64 v1, v18, v1, s[0:1]
.LBB8_20:
	s_or_b64 exec, exec, s[22:23]
	v_lshl_add_u64 v[40:41], v[56:57], 0, s[12:13]
	global_load_dword v72, v[40:41], off
	v_mul_f32_e32 v56, v1, v14
	s_mov_b32 s7, 0x3fb8aa3b
	v_mul_f32_e32 v57, v1, v15
	v_mul_f32_e32 v79, 0x3fb8aa3b, v56
	;; [unrolled: 1-line block ×4, first 2 shown]
	v_fma_f32 v84, v56, s7, -v79
	v_rndne_f32_e32 v85, v79
	v_mul_f32_e32 v77, v1, v17
	v_mul_f32_e32 v81, 0x3fb8aa3b, v76
	v_fma_f32 v86, v57, s7, -v80
	v_rndne_f32_e32 v87, v80
	v_fmac_f32_e32 v84, 0x32a5705f, v56
	v_sub_f32_e32 v79, v79, v85
	v_mul_f32_e32 v82, 0x3fb8aa3b, v77
	v_fma_f32 v88, v76, s7, -v81
	v_rndne_f32_e32 v90, v81
	v_fmac_f32_e32 v86, 0x32a5705f, v57
	v_sub_f32_e32 v80, v80, v87
	v_add_f32_e32 v79, v79, v84
	v_fma_f32 v89, v77, s7, -v82
	v_rndne_f32_e32 v91, v82
	v_fmac_f32_e32 v88, 0x32a5705f, v76
	v_sub_f32_e32 v81, v81, v90
	v_cvt_i32_f32_e32 v85, v85
	v_add_f32_e32 v80, v80, v86
	v_exp_f32_e32 v79, v79
	v_fmac_f32_e32 v89, 0x32a5705f, v77
	v_cvt_i32_f32_e32 v87, v87
	v_sub_f32_e32 v82, v82, v91
	v_add_f32_e32 v81, v81, v88
	v_exp_f32_e32 v80, v80
	v_cvt_i32_f32_e32 v90, v90
	v_add_f32_e32 v82, v82, v89
	v_exp_f32_e32 v81, v81
	s_mov_b32 s3, 0xc2ce8ed0
	v_cvt_i32_f32_e32 v91, v91
	v_exp_f32_e32 v82, v82
	v_ldexp_f32 v79, v79, v85
	v_cmp_ngt_f32_e64 s[0:1], s3, v56
	v_ldexp_f32 v80, v80, v87
	v_ldexp_f32 v81, v81, v90
	v_cndmask_b32_e64 v79, 0, v79, s[0:1]
	v_cmp_ngt_f32_e64 s[0:1], s3, v57
	s_mov_b32 s5, 0x42b17218
	v_mov_b32_e32 v75, 0
	v_cndmask_b32_e64 v80, 0, v80, s[0:1]
	v_cmp_ngt_f32_e64 s[0:1], s3, v76
	v_ldexp_f32 v82, v82, v91
	v_mov_b32_e32 v74, 0x7f800000
	v_cndmask_b32_e64 v81, 0, v81, s[0:1]
	v_cmp_ngt_f32_e64 s[0:1], s3, v77
	ds_read_b128 v[44:47], v75
	ds_read_b128 v[26:29], v75 offset:16
	ds_read_b128 v[22:25], v75 offset:32
	;; [unrolled: 1-line block ×5, first 2 shown]
	v_cndmask_b32_e64 v82, 0, v82, s[0:1]
	v_cmp_nlt_f32_e64 s[0:1], s5, v56
	v_mul_f32_e32 v78, v1, v10
	v_mul_f32_e32 v83, 0x3fb8aa3b, v78
	v_cndmask_b32_e64 v56, v74, v79, s[0:1]
	v_cmp_nlt_f32_e64 s[0:1], s5, v57
	v_fma_f32 v92, v78, s7, -v83
	v_rndne_f32_e32 v93, v83
	v_cndmask_b32_e64 v57, v74, v80, s[0:1]
	v_cmp_nlt_f32_e64 s[0:1], s5, v76
	v_fmac_f32_e32 v92, 0x32a5705f, v78
	v_sub_f32_e32 v83, v83, v93
	v_cndmask_b32_e64 v76, v74, v81, s[0:1]
	v_cmp_nlt_f32_e64 s[0:1], s5, v77
	v_add_f32_e32 v83, v83, v92
	v_cvt_i32_f32_e32 v93, v93
	v_cndmask_b32_e64 v77, v74, v82, s[0:1]
	v_exp_f32_e32 v83, v83
	v_cmp_ngt_f32_e64 s[0:1], s3, v78
	v_ldexp_f32 v83, v83, v93
	s_waitcnt vmcnt(0)
	v_mul_f32_e32 v72, v1, v72
	s_waitcnt lgkmcnt(5)
	v_pk_mul_f32 v[44:45], v[72:73], v[44:45] op_sel_hi:[0,1]
	v_pk_fma_f32 v[44:45], v[58:59], v[56:57], v[44:45]
	v_pk_mul_f32 v[46:47], v[72:73], v[46:47] op_sel_hi:[0,1]
	s_waitcnt lgkmcnt(1)
	v_fma_f32 v56, v48, v44, 0
	v_pk_fma_f32 v[46:47], v[60:61], v[76:77], v[46:47]
	v_fmac_f32_e32 v56, v49, v45
	v_mul_f32_e32 v49, v1, v11
	v_fmac_f32_e32 v56, v50, v46
	v_mul_f32_e32 v48, 0x3fb8aa3b, v49
	v_fmac_f32_e32 v56, v51, v47
	v_fma_f32 v50, v49, s7, -v48
	v_rndne_f32_e32 v51, v48
	v_fmac_f32_e32 v50, 0x32a5705f, v49
	v_sub_f32_e32 v48, v48, v51
	v_add_f32_e32 v48, v48, v50
	v_exp_f32_e32 v50, v48
	v_cvt_i32_f32_e32 v51, v51
	v_cndmask_b32_e64 v48, 0, v83, s[0:1]
	v_cmp_nlt_f32_e64 s[0:1], s5, v78
	v_pk_mul_f32 v[26:27], v[72:73], v[26:27] op_sel_hi:[0,1]
	v_ldexp_f32 v50, v50, v51
	v_cndmask_b32_e64 v48, v74, v48, s[0:1]
	v_cmp_ngt_f32_e64 s[0:1], s3, v49
	v_pk_mul_f32 v[28:29], v[72:73], v[28:29] op_sel_hi:[0,1]
	v_pk_mul_f32 v[22:23], v[72:73], v[22:23] op_sel_hi:[0,1]
	v_cndmask_b32_e64 v50, 0, v50, s[0:1]
	v_cmp_nlt_f32_e64 s[0:1], s5, v49
	v_pk_mul_f32 v[24:25], v[72:73], v[24:25] op_sel_hi:[0,1]
	v_pk_mul_f32 v[18:19], v[72:73], v[18:19] op_sel_hi:[0,1]
	v_cndmask_b32_e64 v49, v74, v50, s[0:1]
	v_pk_fma_f32 v[48:49], v[42:43], v[48:49], v[26:27]
	v_mul_f32_e32 v42, v1, v12
	v_mul_f32_e32 v26, 0x3fb8aa3b, v42
	v_fma_f32 v27, v42, s7, -v26
	v_rndne_f32_e32 v43, v26
	v_fmac_f32_e32 v27, 0x32a5705f, v42
	v_sub_f32_e32 v26, v26, v43
	v_add_f32_e32 v26, v26, v27
	v_exp_f32_e32 v50, v26
	v_cvt_i32_f32_e32 v43, v43
	s_waitcnt lgkmcnt(0)
	v_pk_mul_f32 v[26:27], v[52:53], v[48:49]
	v_cmp_ngt_f32_e64 s[0:1], s3, v42
	v_add_f32_e32 v26, v56, v26
	v_add_f32_e32 v52, v26, v27
	v_mul_f32_e32 v27, v1, v13
	v_ldexp_f32 v26, v50, v43
	v_mul_f32_e32 v43, 0x3fb8aa3b, v27
	v_fma_f32 v50, v27, s7, -v43
	v_rndne_f32_e32 v51, v43
	v_fmac_f32_e32 v50, 0x32a5705f, v27
	v_sub_f32_e32 v43, v43, v51
	v_add_f32_e32 v43, v43, v50
	v_exp_f32_e32 v43, v43
	v_cvt_i32_f32_e32 v50, v51
	v_cndmask_b32_e64 v26, 0, v26, s[0:1]
	v_cmp_nlt_f32_e64 s[0:1], s5, v42
	ds_read_b128 v[58:61], v75 offset:112
	v_ldexp_f32 v42, v43, v50
	v_cndmask_b32_e64 v26, v74, v26, s[0:1]
	v_cmp_ngt_f32_e64 s[0:1], s3, v27
	v_pk_mul_f32 v[20:21], v[72:73], v[20:21] op_sel_hi:[0,1]
	s_nop 0
	v_cndmask_b32_e64 v42, 0, v42, s[0:1]
	v_cmp_nlt_f32_e64 s[0:1], s5, v27
	s_nop 1
	v_cndmask_b32_e64 v27, v74, v42, s[0:1]
	v_pk_fma_f32 v[50:51], v[62:63], v[26:27], v[28:29]
	v_mul_f32_e32 v28, v1, v6
	v_mul_f32_e32 v26, 0x3fb8aa3b, v28
	v_fma_f32 v27, v28, s7, -v26
	v_rndne_f32_e32 v29, v26
	v_fmac_f32_e32 v27, 0x32a5705f, v28
	v_sub_f32_e32 v26, v26, v29
	v_add_f32_e32 v26, v26, v27
	v_exp_f32_e32 v42, v26
	v_cvt_i32_f32_e32 v29, v29
	v_pk_mul_f32 v[26:27], v[54:55], v[50:51]
	v_cmp_ngt_f32_e64 s[0:1], s3, v28
	v_add_f32_e32 v26, v52, v26
	v_add_f32_e32 v43, v26, v27
	v_mul_f32_e32 v27, v1, v7
	v_ldexp_f32 v26, v42, v29
	v_mul_f32_e32 v29, 0x3fb8aa3b, v27
	v_fma_f32 v42, v27, s7, -v29
	v_rndne_f32_e32 v52, v29
	v_fmac_f32_e32 v42, 0x32a5705f, v27
	v_sub_f32_e32 v29, v29, v52
	v_add_f32_e32 v29, v29, v42
	v_exp_f32_e32 v29, v29
	v_cvt_i32_f32_e32 v42, v52
	v_cndmask_b32_e64 v26, 0, v26, s[0:1]
	v_cmp_nlt_f32_e64 s[0:1], s5, v28
	v_ldexp_f32 v28, v29, v42
	s_nop 0
	v_cndmask_b32_e64 v26, v74, v26, s[0:1]
	v_cmp_ngt_f32_e64 s[0:1], s3, v27
	v_mul_f32_e32 v42, v1, v8
	s_nop 0
	v_cndmask_b32_e64 v28, 0, v28, s[0:1]
	v_cmp_nlt_f32_e64 s[0:1], s5, v27
	s_nop 1
	v_cndmask_b32_e64 v27, v74, v28, s[0:1]
	v_pk_fma_f32 v[52:53], v[64:65], v[26:27], v[22:23]
	ds_read_b128 v[26:29], v75 offset:96
	v_mul_f32_e32 v22, 0x3fb8aa3b, v42
	v_fma_f32 v23, v42, s7, -v22
	v_rndne_f32_e32 v54, v22
	v_fmac_f32_e32 v23, 0x32a5705f, v42
	v_sub_f32_e32 v22, v22, v54
	v_add_f32_e32 v22, v22, v23
	v_exp_f32_e32 v55, v22
	v_cvt_i32_f32_e32 v54, v54
	s_waitcnt lgkmcnt(0)
	v_pk_mul_f32 v[22:23], v[26:27], v[52:53]
	v_cmp_ngt_f32_e64 s[0:1], s3, v42
	v_add_f32_e32 v22, v43, v22
	v_add_f32_e32 v26, v22, v23
	v_mul_f32_e32 v23, v1, v9
	v_mul_f32_e32 v27, 0x3fb8aa3b, v23
	v_ldexp_f32 v22, v55, v54
	v_fma_f32 v43, v23, s7, -v27
	v_rndne_f32_e32 v54, v27
	v_fmac_f32_e32 v43, 0x32a5705f, v23
	v_sub_f32_e32 v27, v27, v54
	v_add_f32_e32 v27, v27, v43
	v_exp_f32_e32 v27, v27
	v_cvt_i32_f32_e32 v43, v54
	v_cndmask_b32_e64 v22, 0, v22, s[0:1]
	v_cmp_nlt_f32_e64 s[0:1], s5, v42
	v_ldexp_f32 v27, v27, v43
	s_nop 0
	v_cndmask_b32_e64 v22, v74, v22, s[0:1]
	v_cmp_ngt_f32_e64 s[0:1], s3, v23
	s_nop 1
	v_cndmask_b32_e64 v27, 0, v27, s[0:1]
	v_cmp_nlt_f32_e64 s[0:1], s5, v23
	s_nop 1
	v_cndmask_b32_e64 v23, v74, v27, s[0:1]
	v_pk_fma_f32 v[54:55], v[66:67], v[22:23], v[24:25]
	v_mul_f32_e32 v24, v1, v2
	v_mul_f32_e32 v22, 0x3fb8aa3b, v24
	v_fma_f32 v23, v24, s7, -v22
	v_rndne_f32_e32 v25, v22
	v_fmac_f32_e32 v23, 0x32a5705f, v24
	v_sub_f32_e32 v22, v22, v25
	v_add_f32_e32 v22, v22, v23
	v_exp_f32_e32 v27, v22
	v_cvt_i32_f32_e32 v25, v25
	v_pk_mul_f32 v[22:23], v[28:29], v[54:55]
	v_cmp_ngt_f32_e64 s[0:1], s3, v24
	v_add_f32_e32 v22, v26, v22
	v_add_f32_e32 v26, v22, v23
	v_mul_f32_e32 v23, v1, v3
	v_ldexp_f32 v22, v27, v25
	v_mul_f32_e32 v25, 0x3fb8aa3b, v23
	v_fma_f32 v27, v23, s7, -v25
	v_rndne_f32_e32 v28, v25
	v_fmac_f32_e32 v27, 0x32a5705f, v23
	v_sub_f32_e32 v25, v25, v28
	v_add_f32_e32 v25, v25, v27
	v_exp_f32_e32 v25, v25
	v_cvt_i32_f32_e32 v27, v28
	v_cndmask_b32_e64 v22, 0, v22, s[0:1]
	v_cmp_nlt_f32_e64 s[0:1], s5, v24
	v_ldexp_f32 v24, v25, v27
	s_nop 0
	v_cndmask_b32_e64 v22, v74, v22, s[0:1]
	v_cmp_ngt_f32_e64 s[0:1], s3, v23
	s_nop 1
	v_cndmask_b32_e64 v24, 0, v24, s[0:1]
	v_cmp_nlt_f32_e64 s[0:1], s5, v23
	s_nop 1
	v_cndmask_b32_e64 v23, v74, v24, s[0:1]
	v_pk_fma_f32 v[56:57], v[68:69], v[22:23], v[18:19]
	v_mul_f32_e32 v22, v1, v4
	v_mul_f32_e32 v18, 0x3fb8aa3b, v22
	v_fma_f32 v19, v22, s7, -v18
	v_rndne_f32_e32 v23, v18
	v_fmac_f32_e32 v19, 0x32a5705f, v22
	v_sub_f32_e32 v18, v18, v23
	v_add_f32_e32 v18, v18, v19
	v_exp_f32_e32 v24, v18
	v_cvt_i32_f32_e32 v23, v23
	v_pk_mul_f32 v[18:19], v[58:59], v[56:57]
	v_mul_f32_e32 v1, v1, v5
	v_add_f32_e32 v18, v26, v18
	v_add_f32_e32 v25, v18, v19
	v_mul_f32_e32 v19, 0x3fb8aa3b, v1
	v_ldexp_f32 v18, v24, v23
	v_fma_f32 v23, v1, s7, -v19
	v_rndne_f32_e32 v24, v19
	v_fmac_f32_e32 v23, 0x32a5705f, v1
	v_sub_f32_e32 v19, v19, v24
	v_add_f32_e32 v19, v19, v23
	v_exp_f32_e32 v19, v19
	v_cvt_i32_f32_e32 v23, v24
	v_cmp_ngt_f32_e64 s[0:1], s3, v22
	v_ldexp_f32 v19, v19, v23
	s_nop 0
	v_cndmask_b32_e64 v18, 0, v18, s[0:1]
	v_cmp_nlt_f32_e64 s[0:1], s5, v22
	s_nop 1
	v_cndmask_b32_e64 v18, v74, v18, s[0:1]
	v_cmp_ngt_f32_e64 s[0:1], s3, v1
	s_nop 1
	v_cndmask_b32_e64 v19, 0, v19, s[0:1]
	v_cmp_nlt_f32_e64 s[0:1], s5, v1
	s_nop 1
	v_cndmask_b32_e64 v19, v74, v19, s[0:1]
	v_pk_fma_f32 v[58:59], v[70:71], v[18:19], v[20:21]
	s_ashr_i64 s[0:1], s[16:17], 28
	v_pk_mul_f32 v[18:19], v[60:61], v[58:59]
	s_nop 0
	v_add_f32_e32 v1, v25, v18
	v_add_f32_e32 v1, v1, v19
	v_lshl_add_u64 v[18:19], v[30:31], 0, s[0:1]
	global_store_dword v[18:19], v1, off
	s_barrier
	s_and_saveexec_b64 s[0:1], vcc
	s_cbranch_execz .LBB8_22
; %bb.21:
	v_mad_i64_i32 v[18:19], s[16:17], s4, 20, v[38:39]
	global_load_dword v1, v[18:19], off
	v_mad_i64_i32 v[18:19], s[16:17], s6, 20, v[36:37]
	global_load_dword v18, v[18:19], off
	s_waitcnt vmcnt(1)
	ds_write_b32 v0, v1
	s_waitcnt vmcnt(0)
	ds_write_b32 v73, v18
.LBB8_22:
	s_or_b64 exec, exec, s[0:1]
	v_lshl_add_u64 v[60:61], v[32:33], 0, s[14:15]
	s_waitcnt lgkmcnt(0)
	s_barrier
	global_load_dword v1, v[60:61], off
	s_mov_b32 s0, 0x41a00000
	s_waitcnt vmcnt(0)
	v_cmp_ge_f32_e64 s[0:1], s0, v1
	s_and_saveexec_b64 s[16:17], s[0:1]
	s_cbranch_execz .LBB8_24
; %bb.23:
	v_mul_f32_e32 v18, 0x3fb8aa3b, v1
	s_mov_b32 s0, 0x3fb8aa3b
	v_rndne_f32_e32 v19, v18
	v_sub_f32_e32 v20, v18, v19
	v_fma_f32 v18, v1, s0, -v18
	v_fmamk_f32 v18, v1, 0x32a5705f, v18
	v_add_f32_e32 v18, v20, v18
	v_exp_f32_e32 v18, v18
	v_cvt_i32_f32_e32 v19, v19
	s_mov_b32 s0, 0xc2ce8ed0
	v_cmp_ngt_f32_e64 s[0:1], s0, v1
	v_mov_b32_e32 v42, 0x7f800000
	v_ldexp_f32 v18, v18, v19
	v_cndmask_b32_e64 v18, 0, v18, s[0:1]
	s_mov_b32 s0, 0x42b17218
	v_cmp_nlt_f32_e64 s[0:1], s0, v1
	s_mov_b32 s3, 0x7f800000
	s_nop 0
	v_cndmask_b32_e64 v1, v42, v18, s[0:1]
	v_add_f32_e32 v20, 1.0, v1
	v_add_f32_e32 v18, -1.0, v20
	v_sub_f32_e32 v19, v18, v20
	v_add_f32_e32 v19, 1.0, v19
	v_sub_f32_e32 v18, v1, v18
	v_add_f32_e32 v21, v18, v19
	v_frexp_mant_f32_e32 v22, v20
	s_mov_b32 s0, 0x3f2aaaab
	v_cvt_f64_f32_e32 v[18:19], v20
	v_frexp_exp_i32_f64_e32 v18, v[18:19]
	v_cmp_gt_f32_e64 s[0:1], s0, v22
	s_nop 1
	v_subbrev_co_u32_e64 v26, s[0:1], 0, v18, s[0:1]
	v_sub_u32_e32 v18, 0, v26
	v_ldexp_f32 v19, v20, v18
	v_add_f32_e32 v20, -1.0, v19
	v_add_f32_e32 v22, 1.0, v19
	v_ldexp_f32 v18, v21, v18
	v_add_f32_e32 v21, 1.0, v20
	v_add_f32_e32 v23, -1.0, v22
	v_sub_f32_e32 v21, v19, v21
	v_sub_f32_e32 v19, v19, v23
	v_add_f32_e32 v21, v18, v21
	v_add_f32_e32 v18, v18, v19
	;; [unrolled: 1-line block ×3, first 2 shown]
	v_rcp_f32_e32 v29, v27
	v_sub_f32_e32 v19, v22, v27
	v_add_f32_e32 v28, v18, v19
	v_add_f32_e32 v19, v20, v21
	v_mul_f32_e32 v33, v19, v29
	v_sub_f32_e32 v18, v20, v19
	v_mul_f32_e32 v20, v27, v33
	v_fma_f32 v22, v33, v27, -v20
	v_fmac_f32_e32 v22, v33, v28
	v_add_f32_e32 v32, v21, v18
	v_add_f32_e32 v18, v20, v22
	v_sub_f32_e32 v21, v19, v18
	v_pk_add_f32 v[24:25], v[18:19], v[20:21] neg_lo:[0,1] neg_hi:[0,1]
	v_mov_b32_e32 v23, v18
	v_pk_add_f32 v[18:19], v[24:25], v[22:23] neg_lo:[0,1] neg_hi:[0,1]
	s_mov_b32 s0, 0x3f317218
	v_add_f32_e32 v19, v32, v19
	v_add_f32_e32 v18, v18, v19
	;; [unrolled: 1-line block ×3, first 2 shown]
	v_mul_f32_e32 v32, v29, v19
	v_mul_f32_e32 v20, v27, v32
	v_fma_f32 v22, v32, v27, -v20
	v_fmac_f32_e32 v22, v32, v28
	v_sub_f32_e32 v21, v21, v19
	v_add_f32_e32 v27, v18, v21
	v_add_f32_e32 v18, v20, v22
	v_sub_f32_e32 v21, v19, v18
	v_pk_add_f32 v[24:25], v[18:19], v[20:21] neg_lo:[0,1] neg_hi:[0,1]
	v_mov_b32_e32 v23, v18
	v_pk_add_f32 v[18:19], v[24:25], v[22:23] neg_lo:[0,1] neg_hi:[0,1]
	v_cvt_f32_i32_e32 v20, v26
	v_add_f32_e32 v19, v27, v19
	v_add_f32_e32 v18, v18, v19
	;; [unrolled: 1-line block ×4, first 2 shown]
	v_sub_f32_e32 v19, v21, v33
	v_mul_f32_e32 v18, v29, v18
	v_sub_f32_e32 v19, v32, v19
	v_add_f32_e32 v18, v19, v18
	v_add_f32_e32 v22, v21, v18
	v_mul_f32_e32 v24, v22, v22
	v_mov_b32_e32 v19, 0x3ecc95a3
	v_sub_f32_e32 v21, v22, v21
	v_fmac_f32_e32 v19, 0x3e9b6dac, v24
	v_sub_f32_e32 v18, v18, v21
	v_fmaak_f32 v19, v24, v19, 0x3f2aaada
	v_ldexp_f32 v25, v18, 1
	v_mul_f32_e32 v21, v22, v24
	v_mov_b32_e32 v18, 0x3f317218
	v_pk_mul_f32 v[18:19], v[20:21], v[18:19]
	v_ldexp_f32 v23, v22, 1
	v_fma_f32 v21, v20, s0, -v18
	v_fmamk_f32 v22, v20, 0xb102e308, v21
	v_pk_add_f32 v[20:21], v[18:19], v[22:23]
	v_mov_b32_e32 v24, v18
	v_sub_f32_e32 v23, v21, v23
	v_sub_f32_e32 v23, v19, v23
	v_add_f32_e32 v25, v25, v23
	v_pk_add_f32 v[18:19], v[20:21], v[18:19] neg_lo:[0,1] neg_hi:[0,1]
	v_pk_add_f32 v[26:27], v[20:21], v[24:25]
	v_mov_b32_e32 v23, v20
	v_mov_b32_e32 v19, v27
	v_pk_add_f32 v[28:29], v[22:23], v[18:19] neg_lo:[0,1] neg_hi:[0,1]
	v_pk_add_f32 v[18:19], v[22:23], v[18:19]
	v_mov_b32_e32 v24, v25
	v_pk_add_f32 v[22:23], v[18:19], v[20:21] op_sel:[1,0] op_sel_hi:[0,1] neg_lo:[0,1] neg_hi:[0,1]
	v_pk_add_f32 v[32:33], v[26:27], v[22:23] op_sel_hi:[1,0] neg_lo:[0,1] neg_hi:[0,1]
	v_mov_b32_e32 v26, v27
	v_mov_b32_e32 v27, v19
	v_pk_mov_b32 v[22:23], v[20:21], v[22:23] op_sel:[1,0]
	v_mov_b32_e32 v25, v20
	v_pk_add_f32 v[22:23], v[26:27], v[22:23] neg_lo:[0,1] neg_hi:[0,1]
	v_mov_b32_e32 v32, v28
	v_pk_add_f32 v[20:21], v[24:25], v[22:23] neg_lo:[0,1] neg_hi:[0,1]
	v_mov_b32_e32 v29, v19
	v_pk_add_f32 v[22:23], v[32:33], v[20:21]
	v_cmp_neq_f32_e64 s[0:1], s3, v1
	v_pk_add_f32 v[24:25], v[22:23], v[22:23] op_sel:[0,1] op_sel_hi:[1,0]
	s_nop 0
	v_pk_add_f32 v[18:19], v[18:19], v[24:25] op_sel:[1,0] op_sel_hi:[0,1]
	v_mov_b32_e32 v23, v18
	v_pk_add_f32 v[26:27], v[22:23], v[28:29] neg_lo:[0,1] neg_hi:[0,1]
	v_mov_b32_e32 v21, v24
	v_sub_f32_e32 v19, v22, v26
	v_pk_add_f32 v[20:21], v[20:21], v[26:27] neg_lo:[0,1] neg_hi:[0,1]
	v_sub_f32_e32 v19, v28, v19
	v_add_f32_e32 v19, v20, v19
	v_add_f32_e32 v19, v19, v21
	;; [unrolled: 1-line block ×3, first 2 shown]
	v_cndmask_b32_e64 v18, v42, v18, s[0:1]
	s_mov_b32 s0, 0x33800000
	v_cmp_gt_f32_e64 s[0:1], s0, v1
	s_nop 1
	v_cndmask_b32_e64 v1, v18, v1, s[0:1]
.LBB8_24:
	s_or_b64 exec, exec, s[16:17]
	v_lshl_add_u64 v[42:43], v[40:41], 0, s[12:13]
	global_load_dword v40, v[42:43], off
	v_mul_f32_e32 v32, v1, v14
	v_mul_f32_e32 v33, v1, v15
	;; [unrolled: 1-line block ×5, first 2 shown]
	v_fma_f32 v84, v32, s7, -v78
	v_rndne_f32_e32 v85, v78
	v_mul_f32_e32 v62, v1, v17
	v_mul_f32_e32 v81, 0x3fb8aa3b, v41
	v_fma_f32 v86, v33, s7, -v79
	v_rndne_f32_e32 v87, v79
	v_fmac_f32_e32 v84, 0x32a5705f, v32
	v_sub_f32_e32 v78, v78, v85
	v_mul_f32_e32 v82, 0x3fb8aa3b, v62
	v_fma_f32 v88, v41, s7, -v81
	v_rndne_f32_e32 v90, v81
	v_fmac_f32_e32 v86, 0x32a5705f, v33
	v_sub_f32_e32 v79, v79, v87
	v_add_f32_e32 v78, v78, v84
	v_fma_f32 v89, v62, s7, -v82
	v_rndne_f32_e32 v91, v82
	v_fmac_f32_e32 v88, 0x32a5705f, v41
	v_sub_f32_e32 v81, v81, v90
	v_cvt_i32_f32_e32 v85, v85
	v_add_f32_e32 v79, v79, v86
	v_exp_f32_e32 v78, v78
	v_fmac_f32_e32 v89, 0x32a5705f, v62
	v_cvt_i32_f32_e32 v87, v87
	v_sub_f32_e32 v82, v82, v91
	v_add_f32_e32 v81, v81, v88
	v_exp_f32_e32 v79, v79
	v_cvt_i32_f32_e32 v90, v90
	v_add_f32_e32 v82, v82, v89
	v_exp_f32_e32 v81, v81
	s_mov_b32 s3, 0xc2ce8ed0
	v_cvt_i32_f32_e32 v91, v91
	v_exp_f32_e32 v82, v82
	v_ldexp_f32 v78, v78, v85
	v_cmp_ngt_f32_e64 s[0:1], s3, v32
	v_ldexp_f32 v79, v79, v87
	v_ldexp_f32 v81, v81, v90
	v_cndmask_b32_e64 v78, 0, v78, s[0:1]
	v_cmp_ngt_f32_e64 s[0:1], s3, v33
	v_ldexp_f32 v82, v82, v91
	v_mov_b32_e32 v63, 0x7f800000
	v_cndmask_b32_e64 v79, 0, v79, s[0:1]
	v_cmp_ngt_f32_e64 s[0:1], s3, v41
	v_mov_b32_e32 v72, 0
	ds_read_b128 v[64:67], v72
	ds_read_b128 v[26:29], v72 offset:16
	ds_read_b128 v[22:25], v72 offset:32
	;; [unrolled: 1-line block ×3, first 2 shown]
	v_cndmask_b32_e64 v81, 0, v81, s[0:1]
	v_cmp_ngt_f32_e64 s[0:1], s3, v62
	v_mul_f32_e32 v80, v1, v10
	v_mul_f32_e32 v83, 0x3fb8aa3b, v80
	v_cndmask_b32_e64 v82, 0, v82, s[0:1]
	v_cmp_nlt_f32_e64 s[0:1], s5, v32
	v_fma_f32 v92, v80, s7, -v83
	v_rndne_f32_e32 v93, v83
	v_cndmask_b32_e64 v32, v63, v78, s[0:1]
	v_cmp_nlt_f32_e64 s[0:1], s5, v33
	v_fmac_f32_e32 v92, 0x32a5705f, v80
	v_sub_f32_e32 v83, v83, v93
	v_cndmask_b32_e64 v33, v63, v79, s[0:1]
	v_cmp_nlt_f32_e64 s[0:1], s5, v41
	v_add_f32_e32 v83, v83, v92
	v_cvt_i32_f32_e32 v93, v93
	v_cndmask_b32_e64 v78, v63, v81, s[0:1]
	v_cmp_nlt_f32_e64 s[0:1], s5, v62
	v_exp_f32_e32 v83, v83
	ds_read_b128 v[68:71], v72 offset:64
	ds_read_b128 v[74:77], v72 offset:80
	v_cndmask_b32_e64 v79, v63, v82, s[0:1]
	v_cmp_ngt_f32_e64 s[0:1], s3, v80
	v_ldexp_f32 v83, v83, v93
	s_waitcnt vmcnt(0)
	v_mul_f32_e32 v62, v1, v40
	s_waitcnt lgkmcnt(5)
	v_pk_mul_f32 v[40:41], v[62:63], v[64:65] op_sel_hi:[0,1]
	v_pk_fma_f32 v[40:41], v[44:45], v[32:33], v[40:41]
	v_mul_f32_e32 v45, v1, v11
	v_pk_mul_f32 v[64:65], v[62:63], v[66:67] op_sel_hi:[0,1]
	v_mul_f32_e32 v44, 0x3fb8aa3b, v45
	v_pk_fma_f32 v[32:33], v[46:47], v[78:79], v[64:65]
	v_fma_f32 v47, v45, s7, -v44
	v_rndne_f32_e32 v64, v44
	v_fmac_f32_e32 v47, 0x32a5705f, v45
	v_sub_f32_e32 v44, v44, v64
	v_add_f32_e32 v44, v44, v47
	v_exp_f32_e32 v47, v44
	v_cvt_i32_f32_e32 v64, v64
	v_cndmask_b32_e64 v44, 0, v83, s[0:1]
	v_cmp_nlt_f32_e64 s[0:1], s5, v80
	s_waitcnt lgkmcnt(4)
	v_pk_mul_f32 v[26:27], v[62:63], v[26:27] op_sel_hi:[0,1]
	v_ldexp_f32 v47, v47, v64
	v_cndmask_b32_e64 v44, v63, v44, s[0:1]
	v_cmp_ngt_f32_e64 s[0:1], s3, v45
	s_waitcnt lgkmcnt(1)
	v_fma_f32 v46, v68, v40, 0
	v_fmac_f32_e32 v46, v69, v41
	v_cndmask_b32_e64 v47, 0, v47, s[0:1]
	v_cmp_nlt_f32_e64 s[0:1], s5, v45
	v_fmac_f32_e32 v46, v70, v32
	v_fmac_f32_e32 v46, v71, v33
	v_cndmask_b32_e64 v45, v63, v47, s[0:1]
	v_mul_f32_e32 v47, v1, v12
	v_pk_fma_f32 v[26:27], v[48:49], v[44:45], v[26:27]
	v_mul_f32_e32 v44, 0x3fb8aa3b, v47
	v_fma_f32 v45, v47, s7, -v44
	v_rndne_f32_e32 v48, v44
	v_fmac_f32_e32 v45, 0x32a5705f, v47
	v_sub_f32_e32 v44, v44, v48
	v_add_f32_e32 v44, v44, v45
	v_exp_f32_e32 v49, v44
	v_cvt_i32_f32_e32 v48, v48
	s_waitcnt lgkmcnt(0)
	v_pk_mul_f32 v[44:45], v[74:75], v[26:27]
	v_cmp_ngt_f32_e64 s[0:1], s3, v47
	v_add_f32_e32 v44, v46, v44
	v_add_f32_e32 v46, v44, v45
	v_mul_f32_e32 v45, v1, v13
	v_ldexp_f32 v44, v49, v48
	v_mul_f32_e32 v48, 0x3fb8aa3b, v45
	v_fma_f32 v49, v45, s7, -v48
	v_rndne_f32_e32 v64, v48
	v_fmac_f32_e32 v49, 0x32a5705f, v45
	v_sub_f32_e32 v48, v48, v64
	v_add_f32_e32 v48, v48, v49
	v_exp_f32_e32 v48, v48
	v_cvt_i32_f32_e32 v49, v64
	v_cndmask_b32_e64 v44, 0, v44, s[0:1]
	v_cmp_nlt_f32_e64 s[0:1], s5, v47
	v_pk_mul_f32 v[28:29], v[62:63], v[28:29] op_sel_hi:[0,1]
	v_ldexp_f32 v47, v48, v49
	v_cndmask_b32_e64 v44, v63, v44, s[0:1]
	v_cmp_ngt_f32_e64 s[0:1], s3, v45
	v_pk_mul_f32 v[22:23], v[62:63], v[22:23] op_sel_hi:[0,1]
	v_pk_mul_f32 v[24:25], v[62:63], v[24:25] op_sel_hi:[0,1]
	v_cndmask_b32_e64 v47, 0, v47, s[0:1]
	v_cmp_nlt_f32_e64 s[0:1], s5, v45
	v_pk_mul_f32 v[18:19], v[62:63], v[18:19] op_sel_hi:[0,1]
	v_pk_mul_f32 v[20:21], v[62:63], v[20:21] op_sel_hi:[0,1]
	v_cndmask_b32_e64 v45, v63, v47, s[0:1]
	v_mul_f32_e32 v47, v1, v6
	v_pk_fma_f32 v[28:29], v[50:51], v[44:45], v[28:29]
	v_mul_f32_e32 v44, 0x3fb8aa3b, v47
	v_fma_f32 v45, v47, s7, -v44
	v_rndne_f32_e32 v48, v44
	v_fmac_f32_e32 v45, 0x32a5705f, v47
	v_sub_f32_e32 v44, v44, v48
	v_add_f32_e32 v44, v44, v45
	v_exp_f32_e32 v49, v44
	v_cvt_i32_f32_e32 v48, v48
	v_pk_mul_f32 v[44:45], v[76:77], v[28:29]
	v_cmp_ngt_f32_e64 s[0:1], s3, v47
	v_add_f32_e32 v44, v46, v44
	v_add_f32_e32 v64, v44, v45
	v_mul_f32_e32 v45, v1, v7
	v_mul_f32_e32 v46, 0x3fb8aa3b, v45
	v_ldexp_f32 v44, v49, v48
	v_fma_f32 v48, v45, s7, -v46
	v_rndne_f32_e32 v49, v46
	v_fmac_f32_e32 v48, 0x32a5705f, v45
	v_sub_f32_e32 v46, v46, v49
	v_add_f32_e32 v46, v46, v48
	v_exp_f32_e32 v46, v46
	v_cvt_i32_f32_e32 v48, v49
	v_cndmask_b32_e64 v44, 0, v44, s[0:1]
	v_cmp_nlt_f32_e64 s[0:1], s5, v47
	v_ldexp_f32 v46, v46, v48
	s_nop 0
	v_cndmask_b32_e64 v44, v63, v44, s[0:1]
	v_cmp_ngt_f32_e64 s[0:1], s3, v45
	s_nop 1
	v_cndmask_b32_e64 v46, 0, v46, s[0:1]
	v_cmp_nlt_f32_e64 s[0:1], s5, v45
	s_nop 1
	v_cndmask_b32_e64 v45, v63, v46, s[0:1]
	v_pk_fma_f32 v[22:23], v[52:53], v[44:45], v[22:23]
	v_mul_f32_e32 v52, v1, v8
	ds_read_b128 v[44:47], v72 offset:96
	v_mul_f32_e32 v48, 0x3fb8aa3b, v52
	v_fma_f32 v49, v52, s7, -v48
	v_rndne_f32_e32 v50, v48
	v_fmac_f32_e32 v49, 0x32a5705f, v52
	v_sub_f32_e32 v48, v48, v50
	v_add_f32_e32 v48, v48, v49
	v_exp_f32_e32 v53, v48
	v_cvt_i32_f32_e32 v65, v50
	ds_read_b128 v[48:51], v72 offset:112
	s_waitcnt lgkmcnt(1)
	v_pk_mul_f32 v[44:45], v[44:45], v[22:23]
	v_cmp_ngt_f32_e64 s[0:1], s3, v52
	v_add_f32_e32 v44, v64, v44
	v_add_f32_e32 v64, v44, v45
	v_mul_f32_e32 v45, v1, v9
	v_ldexp_f32 v44, v53, v65
	v_mul_f32_e32 v53, 0x3fb8aa3b, v45
	v_fma_f32 v65, v45, s7, -v53
	v_rndne_f32_e32 v66, v53
	v_fmac_f32_e32 v65, 0x32a5705f, v45
	v_sub_f32_e32 v53, v53, v66
	v_add_f32_e32 v53, v53, v65
	v_exp_f32_e32 v53, v53
	v_cvt_i32_f32_e32 v65, v66
	v_cndmask_b32_e64 v44, 0, v44, s[0:1]
	v_cmp_nlt_f32_e64 s[0:1], s5, v52
	v_ldexp_f32 v52, v53, v65
	s_nop 0
	v_cndmask_b32_e64 v44, v63, v44, s[0:1]
	v_cmp_ngt_f32_e64 s[0:1], s3, v45
	s_nop 1
	v_cndmask_b32_e64 v52, 0, v52, s[0:1]
	v_cmp_nlt_f32_e64 s[0:1], s5, v45
	s_nop 1
	v_cndmask_b32_e64 v45, v63, v52, s[0:1]
	v_mul_f32_e32 v52, v1, v2
	v_pk_fma_f32 v[24:25], v[54:55], v[44:45], v[24:25]
	v_mul_f32_e32 v44, 0x3fb8aa3b, v52
	v_fma_f32 v45, v52, s7, -v44
	v_rndne_f32_e32 v53, v44
	v_fmac_f32_e32 v45, 0x32a5705f, v52
	v_sub_f32_e32 v44, v44, v53
	v_add_f32_e32 v44, v44, v45
	v_exp_f32_e32 v54, v44
	v_cvt_i32_f32_e32 v53, v53
	v_pk_mul_f32 v[44:45], v[46:47], v[24:25]
	v_cmp_ngt_f32_e64 s[0:1], s3, v52
	v_add_f32_e32 v44, v64, v44
	v_add_f32_e32 v46, v44, v45
	v_mul_f32_e32 v45, v1, v3
	v_mul_f32_e32 v47, 0x3fb8aa3b, v45
	v_ldexp_f32 v44, v54, v53
	v_fma_f32 v53, v45, s7, -v47
	v_rndne_f32_e32 v54, v47
	v_fmac_f32_e32 v53, 0x32a5705f, v45
	v_sub_f32_e32 v47, v47, v54
	v_add_f32_e32 v47, v47, v53
	v_exp_f32_e32 v47, v47
	v_cvt_i32_f32_e32 v53, v54
	v_cndmask_b32_e64 v44, 0, v44, s[0:1]
	v_cmp_nlt_f32_e64 s[0:1], s5, v52
	v_ldexp_f32 v47, v47, v53
	s_nop 0
	v_cndmask_b32_e64 v44, v63, v44, s[0:1]
	v_cmp_ngt_f32_e64 s[0:1], s3, v45
	s_nop 1
	v_cndmask_b32_e64 v47, 0, v47, s[0:1]
	v_cmp_nlt_f32_e64 s[0:1], s5, v45
	s_nop 1
	v_cndmask_b32_e64 v45, v63, v47, s[0:1]
	v_mul_f32_e32 v47, v1, v4
	v_pk_fma_f32 v[18:19], v[56:57], v[44:45], v[18:19]
	v_mul_f32_e32 v44, 0x3fb8aa3b, v47
	v_fma_f32 v45, v47, s7, -v44
	v_rndne_f32_e32 v52, v44
	v_fmac_f32_e32 v45, 0x32a5705f, v47
	v_sub_f32_e32 v44, v44, v52
	v_add_f32_e32 v44, v44, v45
	v_exp_f32_e32 v53, v44
	s_waitcnt lgkmcnt(0)
	v_pk_mul_f32 v[44:45], v[48:49], v[18:19]
	v_mul_f32_e32 v1, v1, v5
	v_add_f32_e32 v44, v46, v44
	v_add_f32_e32 v46, v44, v45
	v_mul_f32_e32 v45, 0x3fb8aa3b, v1
	v_fma_f32 v48, v1, s7, -v45
	v_rndne_f32_e32 v49, v45
	v_cvt_i32_f32_e32 v52, v52
	v_fmac_f32_e32 v48, 0x32a5705f, v1
	v_sub_f32_e32 v45, v45, v49
	v_add_f32_e32 v45, v45, v48
	v_exp_f32_e32 v45, v45
	v_cvt_i32_f32_e32 v48, v49
	v_ldexp_f32 v44, v53, v52
	v_cmp_ngt_f32_e64 s[0:1], s3, v47
	v_ldexp_f32 v45, v45, v48
	s_nop 0
	v_cndmask_b32_e64 v44, 0, v44, s[0:1]
	v_cmp_nlt_f32_e64 s[0:1], s5, v47
	s_nop 1
	v_cndmask_b32_e64 v44, v63, v44, s[0:1]
	v_cmp_ngt_f32_e64 s[0:1], s3, v1
	s_nop 1
	v_cndmask_b32_e64 v45, 0, v45, s[0:1]
	v_cmp_nlt_f32_e64 s[0:1], s5, v1
	s_nop 1
	v_cndmask_b32_e64 v45, v63, v45, s[0:1]
	v_pk_fma_f32 v[20:21], v[58:59], v[44:45], v[20:21]
	v_mad_i64_i32 v[30:31], s[0:1], s10, 20, v[30:31]
	v_pk_mul_f32 v[44:45], v[50:51], v[20:21]
	s_nop 0
	v_add_f32_e32 v1, v46, v44
	v_add_f32_e32 v1, v1, v45
	global_store_dword v[30:31], v1, off
	s_barrier
	s_and_saveexec_b64 s[0:1], vcc
	s_cbranch_execz .LBB8_26
; %bb.25:
	v_mad_i64_i32 v[38:39], s[4:5], s4, 24, v[38:39]
	global_load_dword v1, v[38:39], off
	v_mad_i64_i32 v[36:37], s[4:5], s6, 24, v[36:37]
	global_load_dword v36, v[36:37], off
	s_waitcnt vmcnt(1)
	ds_write_b32 v0, v1
	s_waitcnt vmcnt(0)
	ds_write_b32 v73, v36
.LBB8_26:
	s_or_b64 exec, exec, s[0:1]
	v_lshl_add_u64 v[0:1], v[60:61], 0, s[14:15]
	s_waitcnt lgkmcnt(0)
	s_barrier
	global_load_dword v1, v[0:1], off
	s_mov_b32 s0, 0x41a00000
	s_waitcnt vmcnt(0)
	v_cmp_ge_f32_e32 vcc, s0, v1
	s_and_saveexec_b64 s[0:1], vcc
	s_cbranch_execz .LBB8_28
; %bb.27:
	v_mul_f32_e32 v0, 0x3fb8aa3b, v1
	s_mov_b32 s3, 0x3fb8aa3b
	v_rndne_f32_e32 v36, v0
	v_sub_f32_e32 v37, v0, v36
	v_fma_f32 v0, v1, s3, -v0
	v_fmamk_f32 v0, v1, 0x32a5705f, v0
	v_add_f32_e32 v0, v37, v0
	v_exp_f32_e32 v0, v0
	v_cvt_i32_f32_e32 v36, v36
	s_mov_b32 s3, 0xc2ce8ed0
	v_cmp_ngt_f32_e32 vcc, s3, v1
	s_mov_b32 s3, 0x42b17218
	v_ldexp_f32 v0, v0, v36
	v_cndmask_b32_e32 v0, 0, v0, vcc
	v_mov_b32_e32 v52, 0x7f800000
	v_cmp_nlt_f32_e32 vcc, s3, v1
	s_mov_b32 s3, 0x3f2aaaab
	s_mov_b32 s4, 0x7f800000
	v_cndmask_b32_e32 v53, v52, v0, vcc
	v_add_f32_e32 v36, 1.0, v53
	v_add_f32_e32 v0, -1.0, v36
	v_sub_f32_e32 v1, v0, v36
	v_add_f32_e32 v1, 1.0, v1
	v_sub_f32_e32 v0, v53, v0
	v_add_f32_e32 v37, v0, v1
	v_frexp_mant_f32_e32 v38, v36
	v_cvt_f64_f32_e32 v[0:1], v36
	v_frexp_exp_i32_f64_e32 v0, v[0:1]
	v_cmp_gt_f32_e32 vcc, s3, v38
	s_mov_b32 s3, 0x3f317218
	s_nop 0
	v_subbrev_co_u32_e32 v46, vcc, 0, v0, vcc
	v_sub_u32_e32 v0, 0, v46
	v_ldexp_f32 v1, v36, v0
	v_add_f32_e32 v36, -1.0, v1
	v_add_f32_e32 v38, 1.0, v1
	v_ldexp_f32 v0, v37, v0
	v_add_f32_e32 v37, 1.0, v36
	v_add_f32_e32 v39, -1.0, v38
	v_sub_f32_e32 v37, v1, v37
	v_sub_f32_e32 v1, v1, v39
	v_add_f32_e32 v37, v0, v37
	v_add_f32_e32 v0, v0, v1
	;; [unrolled: 1-line block ×3, first 2 shown]
	v_rcp_f32_e32 v49, v47
	v_sub_f32_e32 v1, v38, v47
	v_add_f32_e32 v48, v0, v1
	v_add_f32_e32 v1, v36, v37
	v_mul_f32_e32 v51, v1, v49
	v_sub_f32_e32 v0, v36, v1
	v_mul_f32_e32 v36, v47, v51
	v_fma_f32 v38, v51, v47, -v36
	v_fmac_f32_e32 v38, v51, v48
	v_add_f32_e32 v50, v37, v0
	v_add_f32_e32 v0, v36, v38
	v_sub_f32_e32 v37, v1, v0
	v_pk_add_f32 v[44:45], v[0:1], v[36:37] neg_lo:[0,1] neg_hi:[0,1]
	v_mov_b32_e32 v39, v0
	v_pk_add_f32 v[0:1], v[44:45], v[38:39] neg_lo:[0,1] neg_hi:[0,1]
	v_cmp_neq_f32_e32 vcc, s4, v53
	v_add_f32_e32 v1, v50, v1
	v_add_f32_e32 v0, v0, v1
	;; [unrolled: 1-line block ×3, first 2 shown]
	v_mul_f32_e32 v50, v49, v1
	v_mul_f32_e32 v36, v47, v50
	v_fma_f32 v38, v50, v47, -v36
	v_fmac_f32_e32 v38, v50, v48
	v_sub_f32_e32 v37, v37, v1
	v_add_f32_e32 v47, v0, v37
	v_add_f32_e32 v0, v36, v38
	v_sub_f32_e32 v37, v1, v0
	v_pk_add_f32 v[44:45], v[0:1], v[36:37] neg_lo:[0,1] neg_hi:[0,1]
	v_mov_b32_e32 v39, v0
	v_pk_add_f32 v[0:1], v[44:45], v[38:39] neg_lo:[0,1] neg_hi:[0,1]
	v_cvt_f32_i32_e32 v36, v46
	v_add_f32_e32 v1, v47, v1
	v_add_f32_e32 v0, v0, v1
	;; [unrolled: 1-line block ×4, first 2 shown]
	v_sub_f32_e32 v1, v37, v51
	v_mul_f32_e32 v0, v49, v0
	v_sub_f32_e32 v1, v50, v1
	v_add_f32_e32 v0, v1, v0
	v_add_f32_e32 v38, v37, v0
	v_mul_f32_e32 v44, v38, v38
	v_mov_b32_e32 v1, 0x3ecc95a3
	v_sub_f32_e32 v37, v38, v37
	v_fmac_f32_e32 v1, 0x3e9b6dac, v44
	v_sub_f32_e32 v0, v0, v37
	v_fmaak_f32 v1, v44, v1, 0x3f2aaada
	v_ldexp_f32 v45, v0, 1
	v_mul_f32_e32 v37, v38, v44
	v_mov_b32_e32 v0, 0x3f317218
	v_pk_mul_f32 v[0:1], v[36:37], v[0:1]
	v_ldexp_f32 v39, v38, 1
	v_fma_f32 v37, v36, s3, -v0
	v_fmamk_f32 v38, v36, 0xb102e308, v37
	v_pk_add_f32 v[36:37], v[0:1], v[38:39]
	v_mov_b32_e32 v44, v0
	v_sub_f32_e32 v39, v37, v39
	v_sub_f32_e32 v39, v1, v39
	v_add_f32_e32 v45, v45, v39
	v_pk_add_f32 v[0:1], v[36:37], v[0:1] neg_lo:[0,1] neg_hi:[0,1]
	v_pk_add_f32 v[46:47], v[36:37], v[44:45]
	v_mov_b32_e32 v39, v36
	v_mov_b32_e32 v1, v47
	v_pk_add_f32 v[48:49], v[38:39], v[0:1] neg_lo:[0,1] neg_hi:[0,1]
	v_pk_add_f32 v[0:1], v[38:39], v[0:1]
	v_mov_b32_e32 v44, v45
	v_pk_add_f32 v[38:39], v[0:1], v[36:37] op_sel:[1,0] op_sel_hi:[0,1] neg_lo:[0,1] neg_hi:[0,1]
	v_pk_add_f32 v[50:51], v[46:47], v[38:39] op_sel_hi:[1,0] neg_lo:[0,1] neg_hi:[0,1]
	v_mov_b32_e32 v46, v47
	v_mov_b32_e32 v47, v1
	v_pk_mov_b32 v[38:39], v[36:37], v[38:39] op_sel:[1,0]
	v_mov_b32_e32 v45, v36
	v_pk_add_f32 v[38:39], v[46:47], v[38:39] neg_lo:[0,1] neg_hi:[0,1]
	v_mov_b32_e32 v50, v48
	v_pk_add_f32 v[36:37], v[44:45], v[38:39] neg_lo:[0,1] neg_hi:[0,1]
	v_mov_b32_e32 v49, v1
	v_pk_add_f32 v[38:39], v[50:51], v[36:37]
	s_mov_b32 s3, 0x33800000
	v_pk_add_f32 v[44:45], v[38:39], v[38:39] op_sel:[0,1] op_sel_hi:[1,0]
	s_nop 0
	v_pk_add_f32 v[0:1], v[0:1], v[44:45] op_sel:[1,0] op_sel_hi:[0,1]
	v_mov_b32_e32 v39, v0
	v_pk_add_f32 v[46:47], v[38:39], v[48:49] neg_lo:[0,1] neg_hi:[0,1]
	v_mov_b32_e32 v37, v44
	v_sub_f32_e32 v1, v38, v46
	v_pk_add_f32 v[36:37], v[36:37], v[46:47] neg_lo:[0,1] neg_hi:[0,1]
	v_sub_f32_e32 v1, v48, v1
	v_add_f32_e32 v1, v36, v1
	v_add_f32_e32 v1, v1, v37
	;; [unrolled: 1-line block ×3, first 2 shown]
	v_cndmask_b32_e32 v0, v52, v0, vcc
	v_cmp_gt_f32_e32 vcc, s3, v53
	s_nop 1
	v_cndmask_b32_e32 v1, v0, v53, vcc
.LBB8_28:
	s_or_b64 exec, exec, s[0:1]
	v_lshl_add_u64 v[36:37], v[42:43], 0, s[12:13]
	v_mul_f32_e32 v14, v1, v14
	global_load_dword v0, v[36:37], off
	s_mul_i32 s4, s21, s2
	s_mov_b32 s2, 0x3fb8aa3b
	v_mul_f32_e32 v15, v1, v15
	v_mul_f32_e32 v36, 0x3fb8aa3b, v14
	;; [unrolled: 1-line block ×4, first 2 shown]
	v_fma_f32 v44, v14, s2, -v36
	v_rndne_f32_e32 v45, v36
	v_mul_f32_e32 v17, v1, v17
	v_mul_f32_e32 v38, 0x3fb8aa3b, v16
	v_fma_f32 v46, v15, s2, -v37
	v_rndne_f32_e32 v47, v37
	v_fmac_f32_e32 v44, 0x32a5705f, v14
	v_sub_f32_e32 v36, v36, v45
	v_mul_f32_e32 v10, v1, v10
	v_mul_f32_e32 v39, 0x3fb8aa3b, v17
	v_fma_f32 v48, v16, s2, -v38
	v_rndne_f32_e32 v49, v38
	v_fmac_f32_e32 v46, 0x32a5705f, v15
	v_sub_f32_e32 v37, v37, v47
	v_add_f32_e32 v36, v36, v44
	v_mul_f32_e32 v43, 0x3fb8aa3b, v10
	v_fma_f32 v51, v17, s2, -v39
	v_rndne_f32_e32 v52, v39
	v_cvt_i32_f32_e32 v45, v45
	v_fmac_f32_e32 v48, 0x32a5705f, v16
	v_sub_f32_e32 v38, v38, v49
	v_add_f32_e32 v37, v37, v46
	v_exp_f32_e32 v36, v36
	v_fma_f32 v53, v10, s2, -v43
	v_rndne_f32_e32 v54, v43
	v_cvt_i32_f32_e32 v47, v47
	v_fmac_f32_e32 v51, 0x32a5705f, v17
	v_sub_f32_e32 v39, v39, v52
	v_add_f32_e32 v38, v38, v48
	v_exp_f32_e32 v37, v37
	v_cvt_i32_f32_e32 v49, v49
	v_fmac_f32_e32 v53, 0x32a5705f, v10
	v_sub_f32_e32 v43, v43, v54
	v_add_f32_e32 v39, v39, v51
	v_exp_f32_e32 v38, v38
	s_mov_b32 s0, 0xc2ce8ed0
	v_cvt_i32_f32_e32 v52, v52
	v_add_f32_e32 v43, v43, v53
	v_exp_f32_e32 v39, v39
	v_cvt_i32_f32_e32 v54, v54
	v_exp_f32_e32 v43, v43
	v_ldexp_f32 v36, v36, v45
	v_cmp_ngt_f32_e32 vcc, s0, v14
	v_ldexp_f32 v37, v37, v47
	v_ldexp_f32 v38, v38, v49
	v_cndmask_b32_e32 v36, 0, v36, vcc
	v_cmp_ngt_f32_e32 vcc, s0, v15
	v_ldexp_f32 v39, v39, v52
	s_mov_b32 s1, 0x42b17218
	v_cndmask_b32_e32 v37, 0, v37, vcc
	v_cmp_ngt_f32_e32 vcc, s0, v16
	v_ldexp_f32 v43, v43, v54
	v_mov_b32_e32 v42, 0x7f800000
	v_cndmask_b32_e32 v38, 0, v38, vcc
	v_cmp_ngt_f32_e32 vcc, s0, v17
	v_mul_f32_e32 v11, v1, v11
	v_mul_f32_e32 v12, v1, v12
	v_cndmask_b32_e32 v39, 0, v39, vcc
	v_cmp_ngt_f32_e32 vcc, s0, v10
	v_mul_f32_e32 v6, v1, v6
	v_mul_f32_e32 v7, v1, v7
	v_cndmask_b32_e32 v43, 0, v43, vcc
	v_cmp_nlt_f32_e32 vcc, s1, v14
	v_mul_f32_e32 v14, 0x3fb8aa3b, v11
	v_mul_f32_e32 v8, v1, v8
	v_cndmask_b32_e32 v54, v42, v36, vcc
	v_cmp_nlt_f32_e32 vcc, s1, v15
	v_fma_f32 v15, v11, s2, -v14
	v_fmac_f32_e32 v15, 0x32a5705f, v11
	v_cndmask_b32_e32 v55, v42, v37, vcc
	v_cmp_nlt_f32_e32 vcc, s1, v16
	v_rndne_f32_e32 v16, v14
	v_sub_f32_e32 v14, v14, v16
	v_add_f32_e32 v14, v14, v15
	v_exp_f32_e32 v44, v14
	v_cvt_i32_f32_e32 v45, v16
	v_cndmask_b32_e32 v56, v42, v38, vcc
	v_cmp_nlt_f32_e32 vcc, s1, v17
	v_mul_f32_e32 v2, v1, v2
	v_mul_f32_e32 v3, v1, v3
	v_cndmask_b32_e32 v57, v42, v39, vcc
	v_cmp_nlt_f32_e32 vcc, s1, v10
	v_ldexp_f32 v10, v44, v45
	v_mul_f32_e32 v4, v1, v4
	v_cndmask_b32_e32 v58, v42, v43, vcc
	v_mul_f32_e32 v43, 0x3fb8aa3b, v12
	v_fma_f32 v44, v12, s2, -v43
	v_rndne_f32_e32 v45, v43
	v_fmac_f32_e32 v44, 0x32a5705f, v12
	v_sub_f32_e32 v43, v43, v45
	v_add_f32_e32 v43, v43, v44
	v_exp_f32_e32 v43, v43
	v_cvt_i32_f32_e32 v44, v45
	v_cmp_ngt_f32_e32 vcc, s0, v11
	s_waitcnt vmcnt(0)
	v_mul_f32_e32 v0, v1, v0
	v_mov_b32_e32 v50, 0
	v_cndmask_b32_e32 v10, 0, v10, vcc
	v_cmp_nlt_f32_e32 vcc, s1, v11
	v_mul_f32_e32 v11, v1, v13
	v_mul_f32_e32 v13, 0x3fb8aa3b, v11
	v_cndmask_b32_e32 v59, v42, v10, vcc
	v_ldexp_f32 v10, v43, v44
	v_fma_f32 v43, v11, s2, -v13
	v_rndne_f32_e32 v44, v13
	v_fmac_f32_e32 v43, 0x32a5705f, v11
	v_sub_f32_e32 v13, v13, v44
	v_add_f32_e32 v13, v13, v43
	v_exp_f32_e32 v13, v13
	v_cvt_i32_f32_e32 v43, v44
	v_cmp_ngt_f32_e32 vcc, s0, v12
	ds_read_b128 v[14:17], v50 offset:64
	ds_read_b128 v[36:39], v50 offset:80
	v_cndmask_b32_e32 v10, 0, v10, vcc
	v_cmp_nlt_f32_e32 vcc, s1, v12
	v_mul_f32_e32 v12, 0x3fb8aa3b, v6
	s_add_u32 s3, s18, s8
	v_cndmask_b32_e32 v60, v42, v10, vcc
	v_ldexp_f32 v10, v13, v43
	v_fma_f32 v13, v6, s2, -v12
	v_rndne_f32_e32 v43, v12
	v_fmac_f32_e32 v13, 0x32a5705f, v6
	v_sub_f32_e32 v12, v12, v43
	v_add_f32_e32 v12, v12, v13
	v_exp_f32_e32 v12, v12
	v_cvt_i32_f32_e32 v13, v43
	v_cmp_ngt_f32_e32 vcc, s0, v11
	s_addc_u32 s5, s19, s9
	s_add_u32 s3, s3, s4
	v_cndmask_b32_e32 v10, 0, v10, vcc
	v_cmp_nlt_f32_e32 vcc, s1, v11
	v_mul_f32_e32 v11, 0x3fb8aa3b, v7
	s_addc_u32 s4, s5, 0
	v_cndmask_b32_e32 v61, v42, v10, vcc
	v_ldexp_f32 v10, v12, v13
	v_fma_f32 v12, v7, s2, -v11
	v_rndne_f32_e32 v13, v11
	v_fmac_f32_e32 v12, 0x32a5705f, v7
	v_sub_f32_e32 v11, v11, v13
	v_add_f32_e32 v11, v11, v12
	v_exp_f32_e32 v11, v11
	v_cvt_i32_f32_e32 v12, v13
	v_cmp_ngt_f32_e32 vcc, s0, v6
	v_lshl_add_u64 v[30:31], s[10:11], 2, v[30:31]
	s_nop 0
	v_cndmask_b32_e32 v10, 0, v10, vcc
	v_cmp_nlt_f32_e32 vcc, s1, v6
	v_ldexp_f32 v6, v11, v12
	s_nop 0
	v_cndmask_b32_e32 v62, v42, v10, vcc
	v_mul_f32_e32 v10, 0x3fb8aa3b, v8
	v_fma_f32 v11, v8, s2, -v10
	v_rndne_f32_e32 v12, v10
	v_fmac_f32_e32 v11, 0x32a5705f, v8
	v_sub_f32_e32 v10, v10, v12
	v_add_f32_e32 v10, v10, v11
	v_exp_f32_e32 v10, v10
	v_cvt_i32_f32_e32 v11, v12
	v_cmp_ngt_f32_e32 vcc, s0, v7
	s_nop 1
	v_cndmask_b32_e32 v6, 0, v6, vcc
	v_cmp_nlt_f32_e32 vcc, s1, v7
	v_mul_f32_e32 v7, v1, v9
	v_mul_f32_e32 v9, 0x3fb8aa3b, v7
	v_cndmask_b32_e32 v63, v42, v6, vcc
	v_ldexp_f32 v6, v10, v11
	v_fma_f32 v10, v7, s2, -v9
	v_rndne_f32_e32 v11, v9
	v_fmac_f32_e32 v10, 0x32a5705f, v7
	v_sub_f32_e32 v9, v9, v11
	v_add_f32_e32 v9, v9, v10
	v_exp_f32_e32 v9, v9
	v_cvt_i32_f32_e32 v10, v11
	v_cmp_ngt_f32_e32 vcc, s0, v8
	v_mul_f32_e32 v1, v1, v5
	s_nop 0
	v_cndmask_b32_e32 v6, 0, v6, vcc
	v_cmp_nlt_f32_e32 vcc, s1, v8
	v_mul_f32_e32 v8, 0x3fb8aa3b, v2
	s_nop 0
	v_cndmask_b32_e32 v64, v42, v6, vcc
	v_ldexp_f32 v6, v9, v10
	v_fma_f32 v9, v2, s2, -v8
	v_rndne_f32_e32 v10, v8
	v_fmac_f32_e32 v9, 0x32a5705f, v2
	v_sub_f32_e32 v8, v8, v10
	v_add_f32_e32 v8, v8, v9
	v_exp_f32_e32 v8, v8
	v_cvt_i32_f32_e32 v9, v10
	v_cmp_ngt_f32_e32 vcc, s0, v7
	s_nop 1
	v_cndmask_b32_e32 v6, 0, v6, vcc
	v_cmp_nlt_f32_e32 vcc, s1, v7
	v_mul_f32_e32 v7, 0x3fb8aa3b, v3
	s_nop 0
	v_cndmask_b32_e32 v65, v42, v6, vcc
	v_ldexp_f32 v6, v8, v9
	v_fma_f32 v8, v3, s2, -v7
	v_rndne_f32_e32 v9, v7
	v_fmac_f32_e32 v8, 0x32a5705f, v3
	v_sub_f32_e32 v7, v7, v9
	v_add_f32_e32 v7, v7, v8
	v_exp_f32_e32 v43, v7
	v_cvt_i32_f32_e32 v44, v9
	v_cmp_ngt_f32_e32 vcc, s0, v2
	s_nop 1
	v_cndmask_b32_e32 v6, 0, v6, vcc
	v_cmp_nlt_f32_e32 vcc, s1, v2
	v_ldexp_f32 v2, v43, v44
	v_mul_f32_e32 v43, 0x3fb8aa3b, v4
	v_fma_f32 v44, v4, s2, -v43
	v_rndne_f32_e32 v45, v43
	v_fmac_f32_e32 v44, 0x32a5705f, v4
	v_sub_f32_e32 v43, v43, v45
	v_add_f32_e32 v43, v43, v44
	v_exp_f32_e32 v43, v43
	v_cvt_i32_f32_e32 v44, v45
	v_cndmask_b32_e32 v66, v42, v6, vcc
	v_cmp_ngt_f32_e32 vcc, s0, v3
	ds_read_b128 v[6:9], v50 offset:96
	ds_read_b128 v[10:13], v50 offset:112
	v_cndmask_b32_e32 v2, 0, v2, vcc
	v_cmp_nlt_f32_e32 vcc, s1, v3
	v_mul_f32_e32 v3, 0x3fb8aa3b, v1
	v_fma_f32 v5, v1, s2, -v3
	v_cndmask_b32_e32 v67, v42, v2, vcc
	v_ldexp_f32 v2, v43, v44
	v_rndne_f32_e32 v43, v3
	v_fmac_f32_e32 v5, 0x32a5705f, v1
	v_sub_f32_e32 v3, v3, v43
	v_add_f32_e32 v3, v3, v5
	v_exp_f32_e32 v3, v3
	v_cvt_i32_f32_e32 v5, v43
	v_cmp_ngt_f32_e32 vcc, s0, v4
	s_nop 1
	v_cndmask_b32_e32 v2, 0, v2, vcc
	v_cmp_nlt_f32_e32 vcc, s1, v4
	s_nop 1
	v_cndmask_b32_e32 v68, v42, v2, vcc
	v_ldexp_f32 v2, v3, v5
	v_cmp_ngt_f32_e32 vcc, s0, v1
	s_add_u32 s0, s3, s36
	s_nop 0
	v_cndmask_b32_e32 v2, 0, v2, vcc
	v_cmp_nlt_f32_e32 vcc, s1, v1
	s_addc_u32 s1, s4, s33
	v_lshl_add_u64 v[34:35], v[34:35], 2, s[0:1]
	v_cndmask_b32_e32 v69, v42, v2, vcc
	ds_read_b128 v[2:5], v50
	ds_read_b128 v[42:45], v50 offset:16
	ds_read_b128 v[46:49], v50 offset:32
	;; [unrolled: 1-line block ×3, first 2 shown]
	s_waitcnt lgkmcnt(3)
	v_pk_mul_f32 v[2:3], v[0:1], v[2:3] op_sel_hi:[0,1]
	v_pk_fma_f32 v[2:3], v[40:41], v[54:55], v[2:3]
	v_pk_mul_f32 v[4:5], v[0:1], v[4:5] op_sel_hi:[0,1]
	v_fma_f32 v40, v14, v2, 0
	v_fmac_f32_e32 v40, v15, v3
	v_pk_fma_f32 v[4:5], v[32:33], v[56:57], v[4:5]
	s_waitcnt lgkmcnt(2)
	v_pk_mul_f32 v[14:15], v[0:1], v[42:43] op_sel_hi:[0,1]
	v_fmac_f32_e32 v40, v16, v4
	v_fmac_f32_e32 v40, v17, v5
	v_pk_fma_f32 v[14:15], v[26:27], v[58:59], v[14:15]
	v_pk_mul_f32 v[16:17], v[0:1], v[44:45] op_sel_hi:[0,1]
	v_fmac_f32_e32 v40, v36, v14
	v_fmac_f32_e32 v40, v37, v15
	v_pk_fma_f32 v[16:17], v[28:29], v[60:61], v[16:17]
	s_waitcnt lgkmcnt(1)
	v_pk_mul_f32 v[26:27], v[0:1], v[46:47] op_sel_hi:[0,1]
	v_fmac_f32_e32 v40, v38, v16
	v_fmac_f32_e32 v40, v39, v17
	v_pk_fma_f32 v[22:23], v[22:23], v[62:63], v[26:27]
	s_nop 0
	v_fmac_f32_e32 v40, v6, v22
	v_fmac_f32_e32 v40, v7, v23
	v_pk_mul_f32 v[6:7], v[0:1], v[48:49] op_sel_hi:[0,1]
	v_pk_fma_f32 v[24:25], v[24:25], v[64:65], v[6:7]
	s_waitcnt lgkmcnt(0)
	v_pk_mul_f32 v[6:7], v[0:1], v[50:51] op_sel_hi:[0,1]
	v_fmac_f32_e32 v40, v8, v24
	v_fmac_f32_e32 v40, v9, v25
	v_pk_fma_f32 v[6:7], v[18:19], v[66:67], v[6:7]
	v_pk_mul_f32 v[0:1], v[0:1], v[52:53] op_sel_hi:[0,1]
	v_fmac_f32_e32 v40, v10, v6
	v_fmac_f32_e32 v40, v11, v7
	v_pk_fma_f32 v[8:9], v[20:21], v[68:69], v[0:1]
	s_nop 0
	v_fmac_f32_e32 v40, v12, v8
	v_fmac_f32_e32 v40, v13, v9
	global_store_dword v[30:31], v40, off
	s_barrier
	global_store_dwordx4 v[34:35], v[2:5], off
	global_store_dwordx4 v[34:35], v[14:17], off offset:16
	global_store_dwordx4 v[34:35], v[22:25], off offset:32
	global_store_dwordx4 v[34:35], v[6:9], off offset:48
	s_endpgm
	.section	.rodata,"a",@progbits
	.p2align	6, 0x0
	.amdhsa_kernel _Z12ssm_scan_f32ILm128ELm16ELm7EEvPKfS1_S1_S1_S1_S1_PKiPfiiiiiiiiiiilll
		.amdhsa_group_segment_fixed_size 128
		.amdhsa_private_segment_fixed_size 0
		.amdhsa_kernarg_size 136
		.amdhsa_user_sgpr_count 2
		.amdhsa_user_sgpr_dispatch_ptr 0
		.amdhsa_user_sgpr_queue_ptr 0
		.amdhsa_user_sgpr_kernarg_segment_ptr 1
		.amdhsa_user_sgpr_dispatch_id 0
		.amdhsa_user_sgpr_kernarg_preload_length 0
		.amdhsa_user_sgpr_kernarg_preload_offset 0
		.amdhsa_user_sgpr_private_segment_size 0
		.amdhsa_uses_dynamic_stack 0
		.amdhsa_enable_private_segment 0
		.amdhsa_system_sgpr_workgroup_id_x 1
		.amdhsa_system_sgpr_workgroup_id_y 1
		.amdhsa_system_sgpr_workgroup_id_z 0
		.amdhsa_system_sgpr_workgroup_info 0
		.amdhsa_system_vgpr_workitem_id 0
		.amdhsa_next_free_vgpr 94
		.amdhsa_next_free_sgpr 37
		.amdhsa_accum_offset 96
		.amdhsa_reserve_vcc 1
		.amdhsa_float_round_mode_32 0
		.amdhsa_float_round_mode_16_64 0
		.amdhsa_float_denorm_mode_32 3
		.amdhsa_float_denorm_mode_16_64 3
		.amdhsa_dx10_clamp 1
		.amdhsa_ieee_mode 1
		.amdhsa_fp16_overflow 0
		.amdhsa_tg_split 0
		.amdhsa_exception_fp_ieee_invalid_op 0
		.amdhsa_exception_fp_denorm_src 0
		.amdhsa_exception_fp_ieee_div_zero 0
		.amdhsa_exception_fp_ieee_overflow 0
		.amdhsa_exception_fp_ieee_underflow 0
		.amdhsa_exception_fp_ieee_inexact 0
		.amdhsa_exception_int_div_zero 0
	.end_amdhsa_kernel
	.section	.text._Z12ssm_scan_f32ILm128ELm16ELm7EEvPKfS1_S1_S1_S1_S1_PKiPfiiiiiiiiiiilll,"axG",@progbits,_Z12ssm_scan_f32ILm128ELm16ELm7EEvPKfS1_S1_S1_S1_S1_PKiPfiiiiiiiiiiilll,comdat
.Lfunc_end8:
	.size	_Z12ssm_scan_f32ILm128ELm16ELm7EEvPKfS1_S1_S1_S1_S1_PKiPfiiiiiiiiiiilll, .Lfunc_end8-_Z12ssm_scan_f32ILm128ELm16ELm7EEvPKfS1_S1_S1_S1_S1_PKiPfiiiiiiiiiiilll
                                        ; -- End function
	.set _Z12ssm_scan_f32ILm128ELm16ELm7EEvPKfS1_S1_S1_S1_S1_PKiPfiiiiiiiiiiilll.num_vgpr, 94
	.set _Z12ssm_scan_f32ILm128ELm16ELm7EEvPKfS1_S1_S1_S1_S1_PKiPfiiiiiiiiiiilll.num_agpr, 0
	.set _Z12ssm_scan_f32ILm128ELm16ELm7EEvPKfS1_S1_S1_S1_S1_PKiPfiiiiiiiiiiilll.numbered_sgpr, 37
	.set _Z12ssm_scan_f32ILm128ELm16ELm7EEvPKfS1_S1_S1_S1_S1_PKiPfiiiiiiiiiiilll.num_named_barrier, 0
	.set _Z12ssm_scan_f32ILm128ELm16ELm7EEvPKfS1_S1_S1_S1_S1_PKiPfiiiiiiiiiiilll.private_seg_size, 0
	.set _Z12ssm_scan_f32ILm128ELm16ELm7EEvPKfS1_S1_S1_S1_S1_PKiPfiiiiiiiiiiilll.uses_vcc, 1
	.set _Z12ssm_scan_f32ILm128ELm16ELm7EEvPKfS1_S1_S1_S1_S1_PKiPfiiiiiiiiiiilll.uses_flat_scratch, 0
	.set _Z12ssm_scan_f32ILm128ELm16ELm7EEvPKfS1_S1_S1_S1_S1_PKiPfiiiiiiiiiiilll.has_dyn_sized_stack, 0
	.set _Z12ssm_scan_f32ILm128ELm16ELm7EEvPKfS1_S1_S1_S1_S1_PKiPfiiiiiiiiiiilll.has_recursion, 0
	.set _Z12ssm_scan_f32ILm128ELm16ELm7EEvPKfS1_S1_S1_S1_S1_PKiPfiiiiiiiiiiilll.has_indirect_call, 0
	.section	.AMDGPU.csdata,"",@progbits
; Kernel info:
; codeLenInByte = 19528
; TotalNumSgprs: 43
; NumVgprs: 94
; NumAgprs: 0
; TotalNumVgprs: 94
; ScratchSize: 0
; MemoryBound: 0
; FloatMode: 240
; IeeeMode: 1
; LDSByteSize: 128 bytes/workgroup (compile time only)
; SGPRBlocks: 5
; VGPRBlocks: 11
; NumSGPRsForWavesPerEU: 43
; NumVGPRsForWavesPerEU: 94
; AccumOffset: 96
; Occupancy: 5
; WaveLimiterHint : 1
; COMPUTE_PGM_RSRC2:SCRATCH_EN: 0
; COMPUTE_PGM_RSRC2:USER_SGPR: 2
; COMPUTE_PGM_RSRC2:TRAP_HANDLER: 0
; COMPUTE_PGM_RSRC2:TGID_X_EN: 1
; COMPUTE_PGM_RSRC2:TGID_Y_EN: 1
; COMPUTE_PGM_RSRC2:TGID_Z_EN: 0
; COMPUTE_PGM_RSRC2:TIDIG_COMP_CNT: 0
; COMPUTE_PGM_RSRC3_GFX90A:ACCUM_OFFSET: 23
; COMPUTE_PGM_RSRC3_GFX90A:TG_SPLIT: 0
	.section	.text._Z12ssm_scan_f32ILm128ELm16ELm8EEvPKfS1_S1_S1_S1_S1_PKiPfiiiiiiiiiiilll,"axG",@progbits,_Z12ssm_scan_f32ILm128ELm16ELm8EEvPKfS1_S1_S1_S1_S1_PKiPfiiiiiiiiiiilll,comdat
	.protected	_Z12ssm_scan_f32ILm128ELm16ELm8EEvPKfS1_S1_S1_S1_S1_PKiPfiiiiiiiiiiilll ; -- Begin function _Z12ssm_scan_f32ILm128ELm16ELm8EEvPKfS1_S1_S1_S1_S1_PKiPfiiiiiiiiiiilll
	.globl	_Z12ssm_scan_f32ILm128ELm16ELm8EEvPKfS1_S1_S1_S1_S1_PKiPfiiiiiiiiiiilll
	.p2align	8
	.type	_Z12ssm_scan_f32ILm128ELm16ELm8EEvPKfS1_S1_S1_S1_S1_PKiPfiiiiiiiiiiilll,@function
_Z12ssm_scan_f32ILm128ELm16ELm8EEvPKfS1_S1_S1_S1_S1_PKiPfiiiiiiiiiiilll: ; @_Z12ssm_scan_f32ILm128ELm16ELm8EEvPKfS1_S1_S1_S1_S1_PKiPfiiiiiiiiiiilll
; %bb.0:
	s_load_dwordx16 s[4:19], s[0:1], 0x0
	s_load_dwordx8 s[20:27], s[0:1], 0x40
	s_mov_b32 s34, s3
	s_mov_b32 s3, 0
	s_lshl_b64 s[28:29], s[2:3], 2
	s_waitcnt lgkmcnt(0)
	s_add_u32 s16, s16, s28
	s_addc_u32 s17, s17, s29
	s_load_dword s16, s[16:17], 0x0
	v_mov_b32_e32 v35, 0
	s_mov_b32 s35, s3
	v_cmp_gt_u32_e32 vcc, 16, v0
	v_mov_b32_e32 v1, v35
	s_waitcnt lgkmcnt(0)
	s_mul_i32 s16, s16, s21
	s_ashr_i32 s17, s16, 31
	s_add_u32 s4, s4, s16
	s_addc_u32 s5, s5, s17
	s_lshl_b32 s16, s34, 7
	s_ashr_i32 s17, s20, 31
	s_mul_i32 s17, s16, s17
	s_mul_hi_u32 s28, s16, s20
	s_add_i32 s17, s28, s17
	s_lshr_b32 s28, s34, 25
	s_mul_i32 s29, s28, s20
	s_add_i32 s33, s17, s29
	s_mul_i32 s36, s16, s20
	s_add_u32 s4, s4, s36
	s_addc_u32 s5, s5, s33
	s_ashr_i32 s17, s26, 31
	s_mul_i32 s17, s16, s17
	s_mul_hi_u32 s29, s16, s26
	s_add_i32 s17, s29, s17
	s_mul_i32 s28, s28, s26
	s_add_i32 s17, s17, s28
	s_mul_i32 s16, s16, s26
	s_add_u32 s10, s10, s16
	s_addc_u32 s11, s11, s17
	s_ashr_i32 s17, s26, 2
	s_ashr_i32 s16, s20, 2
	v_mul_lo_u32 v34, s17, v0
	v_lshl_add_u64 v[36:37], v[34:35], 2, s[10:11]
	v_mul_lo_u32 v34, s16, v0
	v_lshl_add_u64 v[38:39], v[34:35], 2, s[4:5]
	global_load_dwordx4 v[2:5], v[36:37], off offset:48
	global_load_dwordx4 v[6:9], v[36:37], off offset:32
	;; [unrolled: 1-line block ×3, first 2 shown]
	global_load_dwordx4 v[14:17], v[36:37], off
	global_load_dwordx4 v[18:21], v[38:39], off offset:48
	global_load_dwordx4 v[22:25], v[38:39], off offset:32
	global_load_dwordx4 v[26:29], v[38:39], off offset:16
	global_load_dwordx4 v[30:33], v[38:39], off
	s_load_dwordx4 s[28:31], s[0:1], 0x60
	v_lshlrev_b32_e32 v0, 2, v0
	v_add_u32_e32 v74, 64, v0
	s_waitcnt lgkmcnt(0)
	s_mul_i32 s3, s28, s2
	s_add_u32 s4, s12, s3
	s_mul_i32 s10, s30, s2
	s_addc_u32 s5, s13, 0
	s_add_u32 s10, s14, s10
	s_addc_u32 s11, s15, 0
	v_lshl_add_u64 v[38:39], s[4:5], 0, v[0:1]
	v_lshl_add_u64 v[36:37], s[10:11], 0, v[0:1]
	s_and_saveexec_b64 s[4:5], vcc
	s_cbranch_execz .LBB9_2
; %bb.1:
	global_load_dword v40, v[38:39], off
	global_load_dword v41, v[36:37], off
	s_waitcnt vmcnt(1)
	ds_write_b32 v0, v40
	s_waitcnt vmcnt(0)
	ds_write_b32 v74, v41
.LBB9_2:
	s_or_b64 exec, exec, s[4:5]
	s_lshl_b64 s[12:13], s[34:35], 9
	s_mul_i32 s3, s25, s2
	s_add_u32 s3, s8, s3
	s_addc_u32 s4, s9, 0
	s_add_u32 s16, s3, s12
	s_addc_u32 s17, s4, s13
	s_waitcnt lgkmcnt(0)
	s_barrier
	global_load_dword v53, v0, s[16:17]
	s_mov_b32 s3, 0x41a00000
	s_waitcnt vmcnt(0)
	v_cmp_ge_f32_e64 s[4:5], s3, v53
	s_and_saveexec_b64 s[8:9], s[4:5]
	s_cbranch_execz .LBB9_4
; %bb.3:
	v_mul_f32_e32 v40, 0x3fb8aa3b, v53
	s_mov_b32 s3, 0x3fb8aa3b
	v_rndne_f32_e32 v41, v40
	v_sub_f32_e32 v42, v40, v41
	v_fma_f32 v40, v53, s3, -v40
	v_fmamk_f32 v40, v53, 0x32a5705f, v40
	v_add_f32_e32 v40, v42, v40
	v_exp_f32_e32 v40, v40
	v_cvt_i32_f32_e32 v41, v41
	s_mov_b32 s3, 0xc2ce8ed0
	v_cmp_ngt_f32_e64 s[4:5], s3, v53
	s_mov_b32 s3, 0x42b17218
	v_ldexp_f32 v40, v40, v41
	v_cndmask_b32_e64 v40, 0, v40, s[4:5]
	v_mov_b32_e32 v54, 0x7f800000
	v_cmp_nlt_f32_e64 s[4:5], s3, v53
	s_mov_b32 s3, 0x3f2aaaab
	s_mov_b32 s10, 0x7f800000
	v_cndmask_b32_e64 v55, v54, v40, s[4:5]
	v_add_f32_e32 v42, 1.0, v55
	v_add_f32_e32 v40, -1.0, v42
	v_sub_f32_e32 v41, v40, v42
	v_add_f32_e32 v41, 1.0, v41
	v_sub_f32_e32 v40, v55, v40
	v_add_f32_e32 v43, v40, v41
	v_frexp_mant_f32_e32 v44, v42
	v_cvt_f64_f32_e32 v[40:41], v42
	v_frexp_exp_i32_f64_e32 v40, v[40:41]
	v_cmp_gt_f32_e64 s[4:5], s3, v44
	s_mov_b32 s3, 0x3f317218
	s_nop 0
	v_subbrev_co_u32_e64 v48, s[4:5], 0, v40, s[4:5]
	v_sub_u32_e32 v40, 0, v48
	v_ldexp_f32 v41, v42, v40
	v_add_f32_e32 v42, -1.0, v41
	v_add_f32_e32 v44, 1.0, v41
	v_ldexp_f32 v40, v43, v40
	v_add_f32_e32 v43, 1.0, v42
	v_add_f32_e32 v45, -1.0, v44
	v_sub_f32_e32 v43, v41, v43
	v_sub_f32_e32 v41, v41, v45
	v_add_f32_e32 v43, v40, v43
	v_add_f32_e32 v40, v40, v41
	;; [unrolled: 1-line block ×3, first 2 shown]
	v_rcp_f32_e32 v51, v49
	v_sub_f32_e32 v41, v44, v49
	v_add_f32_e32 v50, v40, v41
	v_add_f32_e32 v41, v42, v43
	v_mul_f32_e32 v53, v41, v51
	v_sub_f32_e32 v40, v42, v41
	v_mul_f32_e32 v42, v49, v53
	v_fma_f32 v44, v53, v49, -v42
	v_fmac_f32_e32 v44, v53, v50
	v_add_f32_e32 v52, v43, v40
	v_add_f32_e32 v40, v42, v44
	v_sub_f32_e32 v43, v41, v40
	v_pk_add_f32 v[46:47], v[40:41], v[42:43] neg_lo:[0,1] neg_hi:[0,1]
	v_mov_b32_e32 v45, v40
	v_pk_add_f32 v[40:41], v[46:47], v[44:45] neg_lo:[0,1] neg_hi:[0,1]
	v_cmp_neq_f32_e64 s[4:5], s10, v55
	v_add_f32_e32 v41, v52, v41
	v_add_f32_e32 v40, v40, v41
	;; [unrolled: 1-line block ×3, first 2 shown]
	v_mul_f32_e32 v52, v51, v41
	v_mul_f32_e32 v42, v49, v52
	v_fma_f32 v44, v52, v49, -v42
	v_fmac_f32_e32 v44, v52, v50
	v_sub_f32_e32 v43, v43, v41
	v_add_f32_e32 v49, v40, v43
	v_add_f32_e32 v40, v42, v44
	v_sub_f32_e32 v43, v41, v40
	v_pk_add_f32 v[46:47], v[40:41], v[42:43] neg_lo:[0,1] neg_hi:[0,1]
	v_mov_b32_e32 v45, v40
	v_pk_add_f32 v[40:41], v[46:47], v[44:45] neg_lo:[0,1] neg_hi:[0,1]
	v_cvt_f32_i32_e32 v42, v48
	v_add_f32_e32 v41, v49, v41
	v_add_f32_e32 v40, v40, v41
	;; [unrolled: 1-line block ×4, first 2 shown]
	v_sub_f32_e32 v41, v43, v53
	v_mul_f32_e32 v40, v51, v40
	v_sub_f32_e32 v41, v52, v41
	v_add_f32_e32 v40, v41, v40
	v_add_f32_e32 v44, v43, v40
	v_mul_f32_e32 v46, v44, v44
	v_mov_b32_e32 v41, 0x3ecc95a3
	v_sub_f32_e32 v43, v44, v43
	v_fmac_f32_e32 v41, 0x3e9b6dac, v46
	v_sub_f32_e32 v40, v40, v43
	v_fmaak_f32 v41, v46, v41, 0x3f2aaada
	v_ldexp_f32 v47, v40, 1
	v_mul_f32_e32 v43, v44, v46
	v_mov_b32_e32 v40, 0x3f317218
	v_pk_mul_f32 v[40:41], v[42:43], v[40:41]
	v_ldexp_f32 v45, v44, 1
	v_fma_f32 v43, v42, s3, -v40
	v_fmamk_f32 v44, v42, 0xb102e308, v43
	v_pk_add_f32 v[42:43], v[40:41], v[44:45]
	v_mov_b32_e32 v46, v40
	v_sub_f32_e32 v45, v43, v45
	v_sub_f32_e32 v45, v41, v45
	v_add_f32_e32 v47, v47, v45
	v_pk_add_f32 v[40:41], v[42:43], v[40:41] neg_lo:[0,1] neg_hi:[0,1]
	v_pk_add_f32 v[48:49], v[42:43], v[46:47]
	v_mov_b32_e32 v45, v42
	v_mov_b32_e32 v41, v49
	v_pk_add_f32 v[50:51], v[44:45], v[40:41] neg_lo:[0,1] neg_hi:[0,1]
	v_pk_add_f32 v[40:41], v[44:45], v[40:41]
	v_mov_b32_e32 v46, v47
	v_pk_add_f32 v[44:45], v[40:41], v[42:43] op_sel:[1,0] op_sel_hi:[0,1] neg_lo:[0,1] neg_hi:[0,1]
	v_pk_add_f32 v[52:53], v[48:49], v[44:45] op_sel_hi:[1,0] neg_lo:[0,1] neg_hi:[0,1]
	v_mov_b32_e32 v48, v49
	v_mov_b32_e32 v49, v41
	v_pk_mov_b32 v[44:45], v[42:43], v[44:45] op_sel:[1,0]
	v_mov_b32_e32 v47, v42
	v_pk_add_f32 v[44:45], v[48:49], v[44:45] neg_lo:[0,1] neg_hi:[0,1]
	v_mov_b32_e32 v52, v50
	v_pk_add_f32 v[42:43], v[46:47], v[44:45] neg_lo:[0,1] neg_hi:[0,1]
	v_mov_b32_e32 v51, v41
	v_pk_add_f32 v[44:45], v[52:53], v[42:43]
	s_mov_b32 s3, 0x33800000
	v_pk_add_f32 v[46:47], v[44:45], v[44:45] op_sel:[0,1] op_sel_hi:[1,0]
	s_nop 0
	v_pk_add_f32 v[40:41], v[40:41], v[46:47] op_sel:[1,0] op_sel_hi:[0,1]
	v_mov_b32_e32 v45, v40
	v_pk_add_f32 v[48:49], v[44:45], v[50:51] neg_lo:[0,1] neg_hi:[0,1]
	v_mov_b32_e32 v43, v46
	v_sub_f32_e32 v41, v44, v48
	v_pk_add_f32 v[42:43], v[42:43], v[48:49] neg_lo:[0,1] neg_hi:[0,1]
	v_sub_f32_e32 v41, v50, v41
	v_add_f32_e32 v41, v42, v41
	v_add_f32_e32 v41, v41, v43
	;; [unrolled: 1-line block ×3, first 2 shown]
	v_cndmask_b32_e64 v40, v54, v40, s[4:5]
	v_cmp_gt_f32_e64 s[4:5], s3, v55
	s_nop 1
	v_cndmask_b32_e64 v53, v40, v55, s[4:5]
.LBB9_4:
	s_or_b64 exec, exec, s[8:9]
	s_load_dwordx4 s[8:11], s[0:1], 0x70
	s_mul_i32 s3, s23, s2
	v_mul_f32_e32 v50, v53, v14
	s_mov_b32 s23, 0x3fb8aa3b
	v_mul_f32_e32 v51, v53, v15
	s_waitcnt lgkmcnt(0)
	s_mul_i32 s1, s2, s11
	s_mul_hi_u32 s4, s2, s10
	s_mul_i32 s0, s2, s10
	s_add_i32 s1, s4, s1
	s_lshl_b64 s[0:1], s[0:1], 5
	s_add_u32 s5, s18, s0
	s_addc_u32 s25, s19, s1
	s_ashr_i32 s4, s27, 2
	s_add_u32 s0, s6, s3
	s_addc_u32 s1, s7, 0
	s_add_u32 s14, s0, s12
	s_addc_u32 s15, s1, s13
	global_load_dword v52, v0, s[14:15]
	v_mul_f32_e32 v64, 0x3fb8aa3b, v50
	v_mul_f32_e32 v55, v53, v16
	;; [unrolled: 1-line block ×3, first 2 shown]
	v_fma_f32 v72, v50, s23, -v64
	v_rndne_f32_e32 v73, v64
	v_mul_f32_e32 v65, v53, v17
	v_mul_f32_e32 v69, 0x3fb8aa3b, v55
	v_fma_f32 v75, v51, s23, -v68
	v_rndne_f32_e32 v76, v68
	v_fmac_f32_e32 v72, 0x32a5705f, v50
	v_sub_f32_e32 v64, v64, v73
	v_mul_f32_e32 v70, 0x3fb8aa3b, v65
	v_fma_f32 v77, v55, s23, -v69
	v_rndne_f32_e32 v78, v69
	v_fmac_f32_e32 v75, 0x32a5705f, v51
	v_sub_f32_e32 v68, v68, v76
	v_add_f32_e32 v64, v64, v72
	v_fma_f32 v79, v65, s23, -v70
	v_rndne_f32_e32 v80, v70
	v_cvt_i32_f32_e32 v73, v73
	v_fmac_f32_e32 v77, 0x32a5705f, v55
	v_sub_f32_e32 v69, v69, v78
	v_add_f32_e32 v68, v68, v75
	v_exp_f32_e32 v64, v64
	v_cvt_i32_f32_e32 v76, v76
	v_fmac_f32_e32 v79, 0x32a5705f, v65
	v_sub_f32_e32 v70, v70, v80
	v_add_f32_e32 v69, v69, v77
	v_exp_f32_e32 v68, v68
	v_cvt_i32_f32_e32 v78, v78
	v_add_f32_e32 v70, v70, v79
	v_exp_f32_e32 v69, v69
	s_mov_b32 s3, 0xc2ce8ed0
	v_cvt_i32_f32_e32 v80, v80
	v_exp_f32_e32 v70, v70
	v_ldexp_f32 v64, v64, v73
	v_cmp_ngt_f32_e64 s[0:1], s3, v50
	v_ldexp_f32 v68, v68, v76
	v_ldexp_f32 v69, v69, v78
	v_cndmask_b32_e64 v64, 0, v64, s[0:1]
	v_cmp_ngt_f32_e64 s[0:1], s3, v51
	s_mov_b32 s20, 0x42b17218
	v_ldexp_f32 v70, v70, v80
	v_cndmask_b32_e64 v68, 0, v68, s[0:1]
	v_cmp_ngt_f32_e64 s[0:1], s3, v55
	v_lshl_add_u64 v[44:45], s[16:17], 0, v[0:1]
	v_mov_b32_e32 v1, 0
	v_cndmask_b32_e64 v69, 0, v69, s[0:1]
	v_cmp_ngt_f32_e64 s[0:1], s3, v65
	v_mov_b32_e32 v54, 0x7f800000
	v_mul_f32_e32 v66, v53, v10
	v_cndmask_b32_e64 v70, 0, v70, s[0:1]
	v_cmp_nlt_f32_e64 s[0:1], s20, v50
	ds_read_b128 v[40:43], v1
	ds_read_b128 v[46:49], v1 offset:16
	ds_read_b128 v[56:59], v1 offset:64
	;; [unrolled: 1-line block ×3, first 2 shown]
	v_cndmask_b32_e64 v50, v54, v64, s[0:1]
	v_cmp_nlt_f32_e64 s[0:1], s20, v51
	v_mul_f32_e32 v71, 0x3fb8aa3b, v66
	v_mul_f32_e32 v67, v53, v11
	v_cndmask_b32_e64 v51, v54, v68, s[0:1]
	v_cmp_nlt_f32_e64 s[0:1], s20, v55
	v_fma_f32 v81, v66, s23, -v71
	v_rndne_f32_e32 v82, v71
	v_cndmask_b32_e64 v64, v54, v69, s[0:1]
	v_cmp_nlt_f32_e64 s[0:1], s20, v65
	v_fmac_f32_e32 v81, 0x32a5705f, v66
	v_sub_f32_e32 v71, v71, v82
	v_cndmask_b32_e64 v65, v54, v70, s[0:1]
	v_add_f32_e32 v71, v71, v81
	v_cvt_i32_f32_e32 v82, v82
	v_exp_f32_e32 v71, v71
	v_cmp_ngt_f32_e64 s[0:1], s3, v66
	v_mul_f32_e32 v55, v53, v12
	s_add_u32 s16, s5, s12
	v_ldexp_f32 v71, v71, v82
	s_addc_u32 s17, s25, s13
	s_ashr_i32 s6, s29, 2
	s_ashr_i32 s5, s4, 31
	s_ashr_i32 s7, s6, 31
	s_waitcnt vmcnt(0)
	v_mul_f32_e32 v52, v53, v52
	s_waitcnt lgkmcnt(3)
	v_pk_mul_f32 v[40:41], v[52:53], v[40:41] op_sel_hi:[0,1]
	v_pk_mul_f32 v[42:43], v[52:53], v[42:43] op_sel_hi:[0,1]
	v_pk_fma_f32 v[40:41], v[30:31], v[50:51], v[40:41]
	v_mul_f32_e32 v30, 0x3fb8aa3b, v67
	v_pk_fma_f32 v[42:43], v[32:33], v[64:65], v[42:43]
	v_fma_f32 v31, v67, s23, -v30
	v_rndne_f32_e32 v32, v30
	v_fmac_f32_e32 v31, 0x32a5705f, v67
	v_sub_f32_e32 v30, v30, v32
	v_add_f32_e32 v30, v30, v31
	v_exp_f32_e32 v31, v30
	v_cvt_i32_f32_e32 v32, v32
	v_cndmask_b32_e64 v30, 0, v71, s[0:1]
	v_cmp_nlt_f32_e64 s[0:1], s20, v66
	s_waitcnt lgkmcnt(1)
	v_fma_f32 v50, v56, v40, 0
	v_ldexp_f32 v31, v31, v32
	v_cndmask_b32_e64 v30, v54, v30, s[0:1]
	v_cmp_ngt_f32_e64 s[0:1], s3, v67
	v_pk_mul_f32 v[32:33], v[52:53], v[46:47] op_sel_hi:[0,1]
	v_fmac_f32_e32 v50, v57, v41
	v_cndmask_b32_e64 v31, 0, v31, s[0:1]
	v_cmp_nlt_f32_e64 s[0:1], s20, v67
	v_mul_f32_e32 v57, v53, v13
	v_fmac_f32_e32 v50, v58, v42
	v_cndmask_b32_e64 v31, v54, v31, s[0:1]
	v_pk_fma_f32 v[26:27], v[26:27], v[30:31], v[32:33]
	v_mul_f32_e32 v32, 0x3fb8aa3b, v55
	v_fma_f32 v33, v55, s23, -v32
	v_rndne_f32_e32 v46, v32
	v_fmac_f32_e32 v33, 0x32a5705f, v55
	v_sub_f32_e32 v32, v32, v46
	v_add_f32_e32 v32, v32, v33
	v_cvt_i32_f32_e32 v33, v46
	v_mul_f32_e32 v46, 0x3fb8aa3b, v57
	v_fma_f32 v47, v57, s23, -v46
	v_rndne_f32_e32 v51, v46
	v_fmac_f32_e32 v47, 0x32a5705f, v57
	v_sub_f32_e32 v46, v46, v51
	v_add_f32_e32 v46, v46, v47
	v_exp_f32_e32 v46, v46
	v_cvt_i32_f32_e32 v47, v51
	v_exp_f32_e32 v32, v32
	v_fmac_f32_e32 v50, v59, v43
	s_waitcnt lgkmcnt(0)
	v_pk_mul_f32 v[30:31], v[60:61], v[26:27]
	v_cmp_ngt_f32_e64 s[0:1], s3, v57
	v_add_f32_e32 v30, v50, v30
	v_add_f32_e32 v58, v30, v31
	v_ldexp_f32 v30, v46, v47
	v_ldexp_f32 v56, v32, v33
	v_cndmask_b32_e64 v59, 0, v30, s[0:1]
	v_cmp_ngt_f32_e64 s[0:1], s3, v55
	v_pk_mul_f32 v[50:51], v[52:53], v[48:49] op_sel_hi:[0,1]
	ds_read_b128 v[46:49], v1 offset:32
	ds_read_b128 v[30:33], v1 offset:48
	v_cndmask_b32_e64 v56, 0, v56, s[0:1]
	v_cmp_nlt_f32_e64 s[0:1], s20, v55
	v_mul_f32_e32 v55, v53, v6
	s_waitcnt lgkmcnt(1)
	v_pk_mul_f32 v[46:47], v[52:53], v[46:47] op_sel_hi:[0,1]
	v_cndmask_b32_e64 v56, v54, v56, s[0:1]
	v_cmp_nlt_f32_e64 s[0:1], s20, v57
	s_nop 1
	v_cndmask_b32_e64 v57, v54, v59, s[0:1]
	v_pk_fma_f32 v[28:29], v[28:29], v[56:57], v[50:51]
	v_mul_f32_e32 v50, 0x3fb8aa3b, v55
	v_fma_f32 v51, v55, s23, -v50
	v_rndne_f32_e32 v56, v50
	v_fmac_f32_e32 v51, 0x32a5705f, v55
	v_sub_f32_e32 v50, v50, v56
	v_add_f32_e32 v50, v50, v51
	v_exp_f32_e32 v57, v50
	v_cvt_i32_f32_e32 v56, v56
	v_pk_mul_f32 v[50:51], v[62:63], v[28:29]
	v_cmp_ngt_f32_e64 s[0:1], s3, v55
	v_add_f32_e32 v50, v58, v50
	v_add_f32_e32 v64, v50, v51
	v_mul_f32_e32 v51, v53, v7
	v_ldexp_f32 v50, v57, v56
	v_mul_f32_e32 v56, 0x3fb8aa3b, v51
	v_fma_f32 v57, v51, s23, -v56
	v_rndne_f32_e32 v58, v56
	v_fmac_f32_e32 v57, 0x32a5705f, v51
	v_sub_f32_e32 v56, v56, v58
	v_add_f32_e32 v56, v56, v57
	v_exp_f32_e32 v56, v56
	v_cvt_i32_f32_e32 v57, v58
	v_cndmask_b32_e64 v50, 0, v50, s[0:1]
	v_cmp_nlt_f32_e64 s[0:1], s20, v55
	ds_read_b128 v[60:63], v1 offset:112
	v_ldexp_f32 v55, v56, v57
	v_cndmask_b32_e64 v50, v54, v50, s[0:1]
	v_cmp_ngt_f32_e64 s[0:1], s3, v51
	ds_read_b128 v[56:59], v1 offset:96
	s_nop 0
	v_cndmask_b32_e64 v55, 0, v55, s[0:1]
	v_cmp_nlt_f32_e64 s[0:1], s20, v51
	s_nop 1
	v_cndmask_b32_e64 v51, v54, v55, s[0:1]
	v_pk_fma_f32 v[46:47], v[22:23], v[50:51], v[46:47]
	v_mul_f32_e32 v50, v53, v8
	v_mul_f32_e32 v51, 0x3fb8aa3b, v50
	s_waitcnt lgkmcnt(0)
	v_pk_mul_f32 v[22:23], v[56:57], v[46:47]
	v_fma_f32 v55, v50, s23, -v51
	v_rndne_f32_e32 v56, v51
	v_fmac_f32_e32 v55, 0x32a5705f, v50
	v_sub_f32_e32 v51, v51, v56
	v_add_f32_e32 v51, v51, v55
	v_cvt_i32_f32_e32 v55, v56
	v_mul_f32_e32 v56, v53, v9
	v_mul_f32_e32 v57, 0x3fb8aa3b, v56
	v_add_f32_e32 v22, v64, v22
	v_fma_f32 v64, v56, s23, -v57
	v_rndne_f32_e32 v65, v57
	v_fmac_f32_e32 v64, 0x32a5705f, v56
	v_sub_f32_e32 v57, v57, v65
	v_add_f32_e32 v57, v57, v64
	v_exp_f32_e32 v57, v57
	v_cvt_i32_f32_e32 v64, v65
	v_exp_f32_e32 v51, v51
	v_add_f32_e32 v65, v22, v23
	v_pk_mul_f32 v[22:23], v[52:53], v[48:49] op_sel_hi:[0,1]
	v_ldexp_f32 v49, v57, v64
	v_cmp_ngt_f32_e64 s[0:1], s3, v56
	v_ldexp_f32 v48, v51, v55
	s_nop 0
	v_cndmask_b32_e64 v49, 0, v49, s[0:1]
	v_cmp_ngt_f32_e64 s[0:1], s3, v50
	s_nop 1
	v_cndmask_b32_e64 v48, 0, v48, s[0:1]
	v_cmp_nlt_f32_e64 s[0:1], s20, v50
	s_nop 1
	v_cndmask_b32_e64 v48, v54, v48, s[0:1]
	v_cmp_nlt_f32_e64 s[0:1], s20, v56
	s_nop 1
	v_cndmask_b32_e64 v49, v54, v49, s[0:1]
	v_pk_fma_f32 v[48:49], v[24:25], v[48:49], v[22:23]
	v_mul_f32_e32 v24, v53, v2
	v_mul_f32_e32 v22, 0x3fb8aa3b, v24
	v_fma_f32 v23, v24, s23, -v22
	v_rndne_f32_e32 v25, v22
	v_fmac_f32_e32 v23, 0x32a5705f, v24
	v_sub_f32_e32 v22, v22, v25
	v_add_f32_e32 v22, v22, v23
	v_exp_f32_e32 v50, v22
	v_cvt_i32_f32_e32 v25, v25
	v_pk_mul_f32 v[22:23], v[58:59], v[48:49]
	v_cmp_ngt_f32_e64 s[0:1], s3, v24
	v_add_f32_e32 v22, v65, v22
	v_add_f32_e32 v55, v22, v23
	v_mul_f32_e32 v23, v53, v3
	v_ldexp_f32 v22, v50, v25
	v_mul_f32_e32 v25, 0x3fb8aa3b, v23
	v_fma_f32 v50, v23, s23, -v25
	v_rndne_f32_e32 v51, v25
	v_fmac_f32_e32 v50, 0x32a5705f, v23
	v_sub_f32_e32 v25, v25, v51
	v_add_f32_e32 v25, v25, v50
	v_exp_f32_e32 v25, v25
	v_cvt_i32_f32_e32 v50, v51
	v_cndmask_b32_e64 v22, 0, v22, s[0:1]
	v_cmp_nlt_f32_e64 s[0:1], s20, v24
	v_ldexp_f32 v24, v25, v50
	s_nop 0
	v_cndmask_b32_e64 v22, v54, v22, s[0:1]
	v_cmp_ngt_f32_e64 s[0:1], s3, v23
	s_nop 1
	v_cndmask_b32_e64 v24, 0, v24, s[0:1]
	v_cmp_nlt_f32_e64 s[0:1], s20, v23
	s_nop 1
	v_cndmask_b32_e64 v23, v54, v24, s[0:1]
	v_pk_mul_f32 v[24:25], v[52:53], v[30:31] op_sel_hi:[0,1]
	v_pk_fma_f32 v[50:51], v[18:19], v[22:23], v[24:25]
	v_mul_f32_e32 v22, v53, v4
	v_mul_f32_e32 v18, 0x3fb8aa3b, v22
	v_fma_f32 v19, v22, s23, -v18
	v_rndne_f32_e32 v23, v18
	v_fmac_f32_e32 v19, 0x32a5705f, v22
	v_sub_f32_e32 v18, v18, v23
	v_add_f32_e32 v18, v18, v19
	v_exp_f32_e32 v24, v18
	v_cvt_i32_f32_e32 v23, v23
	v_pk_mul_f32 v[18:19], v[60:61], v[50:51]
	v_cmp_ngt_f32_e64 s[0:1], s3, v22
	v_add_f32_e32 v18, v55, v18
	v_add_f32_e32 v25, v18, v19
	v_mul_f32_e32 v19, v53, v5
	v_ldexp_f32 v18, v24, v23
	v_mul_f32_e32 v23, 0x3fb8aa3b, v19
	v_fma_f32 v24, v19, s23, -v23
	v_rndne_f32_e32 v30, v23
	v_fmac_f32_e32 v24, 0x32a5705f, v19
	v_sub_f32_e32 v23, v23, v30
	v_add_f32_e32 v23, v23, v24
	v_exp_f32_e32 v23, v23
	v_cvt_i32_f32_e32 v24, v30
	v_cndmask_b32_e64 v18, 0, v18, s[0:1]
	v_cmp_nlt_f32_e64 s[0:1], s20, v22
	v_ldexp_f32 v22, v23, v24
	s_nop 0
	v_cndmask_b32_e64 v18, v54, v18, s[0:1]
	v_cmp_ngt_f32_e64 s[0:1], s3, v19
	s_nop 1
	v_cndmask_b32_e64 v22, 0, v22, s[0:1]
	v_cmp_nlt_f32_e64 s[0:1], s20, v19
	s_nop 1
	v_cndmask_b32_e64 v19, v54, v22, s[0:1]
	v_pk_mul_f32 v[22:23], v[52:53], v[32:33] op_sel_hi:[0,1]
	v_pk_fma_f32 v[52:53], v[20:21], v[18:19], v[22:23]
	s_nop 0
	v_pk_mul_f32 v[18:19], v[62:63], v[52:53]
	s_nop 0
	v_add_f32_e32 v18, v25, v18
	v_add_f32_e32 v18, v18, v19
	global_store_dword v0, v18, s[16:17]
	s_barrier
	s_and_saveexec_b64 s[0:1], vcc
	s_cbranch_execz .LBB9_6
; %bb.5:
	v_lshl_add_u64 v[18:19], s[4:5], 2, v[38:39]
	global_load_dword v20, v[18:19], off
	v_lshl_add_u64 v[18:19], s[6:7], 2, v[36:37]
	global_load_dword v18, v[18:19], off
	s_waitcnt vmcnt(1)
	ds_write_b32 v0, v20
	s_waitcnt vmcnt(0)
	ds_write_b32 v74, v18
.LBB9_6:
	s_or_b64 exec, exec, s[0:1]
	s_ashr_i32 s12, s24, 2
	s_ashr_i32 s13, s12, 31
	v_lshl_add_u64 v[54:55], s[12:13], 2, v[44:45]
	s_waitcnt lgkmcnt(0)
	s_barrier
	global_load_dword v59, v[54:55], off
	s_mov_b32 s0, 0x41a00000
	v_lshl_add_u64 v[18:19], s[14:15], 0, v[0:1]
	v_lshl_add_u64 v[30:31], s[16:17], 0, v[0:1]
	s_waitcnt vmcnt(0)
	v_cmp_ge_f32_e64 s[0:1], s0, v59
	s_and_saveexec_b64 s[14:15], s[0:1]
	s_cbranch_execz .LBB9_8
; %bb.7:
	v_mul_f32_e32 v1, 0x3fb8aa3b, v59
	s_mov_b32 s0, 0x3fb8aa3b
	v_rndne_f32_e32 v20, v1
	v_sub_f32_e32 v21, v1, v20
	v_fma_f32 v1, v59, s0, -v1
	v_fmamk_f32 v1, v59, 0x32a5705f, v1
	v_add_f32_e32 v1, v21, v1
	v_exp_f32_e32 v1, v1
	v_cvt_i32_f32_e32 v20, v20
	s_mov_b32 s0, 0xc2ce8ed0
	v_cmp_ngt_f32_e64 s[0:1], s0, v59
	v_mov_b32_e32 v60, 0x7f800000
	v_ldexp_f32 v1, v1, v20
	v_cndmask_b32_e64 v1, 0, v1, s[0:1]
	s_mov_b32 s0, 0x42b17218
	v_cmp_nlt_f32_e64 s[0:1], s0, v59
	s_mov_b32 s3, 0x7f800000
	s_nop 0
	v_cndmask_b32_e64 v1, v60, v1, s[0:1]
	v_add_f32_e32 v22, 1.0, v1
	v_add_f32_e32 v20, -1.0, v22
	v_sub_f32_e32 v21, v20, v22
	v_add_f32_e32 v21, 1.0, v21
	v_sub_f32_e32 v20, v1, v20
	v_add_f32_e32 v23, v20, v21
	v_frexp_mant_f32_e32 v24, v22
	s_mov_b32 s0, 0x3f2aaaab
	v_cvt_f64_f32_e32 v[20:21], v22
	v_frexp_exp_i32_f64_e32 v20, v[20:21]
	v_cmp_gt_f32_e64 s[0:1], s0, v24
	s_nop 1
	v_subbrev_co_u32_e64 v44, s[0:1], 0, v20, s[0:1]
	v_sub_u32_e32 v20, 0, v44
	v_ldexp_f32 v21, v22, v20
	v_add_f32_e32 v22, -1.0, v21
	v_add_f32_e32 v24, 1.0, v21
	v_ldexp_f32 v20, v23, v20
	v_add_f32_e32 v23, 1.0, v22
	v_add_f32_e32 v25, -1.0, v24
	v_sub_f32_e32 v23, v21, v23
	v_sub_f32_e32 v21, v21, v25
	v_add_f32_e32 v23, v20, v23
	v_add_f32_e32 v20, v20, v21
	;; [unrolled: 1-line block ×3, first 2 shown]
	v_rcp_f32_e32 v57, v45
	v_sub_f32_e32 v21, v24, v45
	v_add_f32_e32 v56, v20, v21
	v_add_f32_e32 v21, v22, v23
	v_mul_f32_e32 v59, v21, v57
	v_sub_f32_e32 v20, v22, v21
	v_mul_f32_e32 v22, v45, v59
	v_fma_f32 v24, v59, v45, -v22
	v_fmac_f32_e32 v24, v59, v56
	v_add_f32_e32 v58, v23, v20
	v_add_f32_e32 v20, v22, v24
	v_sub_f32_e32 v23, v21, v20
	v_pk_add_f32 v[32:33], v[20:21], v[22:23] neg_lo:[0,1] neg_hi:[0,1]
	v_mov_b32_e32 v25, v20
	v_pk_add_f32 v[20:21], v[32:33], v[24:25] neg_lo:[0,1] neg_hi:[0,1]
	s_mov_b32 s0, 0x3f317218
	v_add_f32_e32 v21, v58, v21
	v_add_f32_e32 v20, v20, v21
	;; [unrolled: 1-line block ×3, first 2 shown]
	v_mul_f32_e32 v58, v57, v21
	v_mul_f32_e32 v22, v45, v58
	v_fma_f32 v24, v58, v45, -v22
	v_fmac_f32_e32 v24, v58, v56
	v_sub_f32_e32 v23, v23, v21
	v_add_f32_e32 v45, v20, v23
	v_add_f32_e32 v20, v22, v24
	v_sub_f32_e32 v23, v21, v20
	v_pk_add_f32 v[32:33], v[20:21], v[22:23] neg_lo:[0,1] neg_hi:[0,1]
	v_mov_b32_e32 v25, v20
	v_pk_add_f32 v[20:21], v[32:33], v[24:25] neg_lo:[0,1] neg_hi:[0,1]
	v_cvt_f32_i32_e32 v22, v44
	v_add_f32_e32 v21, v45, v21
	v_add_f32_e32 v20, v20, v21
	;; [unrolled: 1-line block ×4, first 2 shown]
	v_sub_f32_e32 v21, v23, v59
	v_mul_f32_e32 v20, v57, v20
	v_sub_f32_e32 v21, v58, v21
	v_add_f32_e32 v20, v21, v20
	v_add_f32_e32 v24, v23, v20
	v_mul_f32_e32 v32, v24, v24
	v_mov_b32_e32 v21, 0x3ecc95a3
	v_sub_f32_e32 v23, v24, v23
	v_fmac_f32_e32 v21, 0x3e9b6dac, v32
	v_sub_f32_e32 v20, v20, v23
	v_fmaak_f32 v21, v32, v21, 0x3f2aaada
	v_ldexp_f32 v33, v20, 1
	v_mul_f32_e32 v23, v24, v32
	v_mov_b32_e32 v20, 0x3f317218
	v_pk_mul_f32 v[20:21], v[22:23], v[20:21]
	v_ldexp_f32 v25, v24, 1
	v_fma_f32 v23, v22, s0, -v20
	v_fmamk_f32 v24, v22, 0xb102e308, v23
	v_pk_add_f32 v[22:23], v[20:21], v[24:25]
	v_mov_b32_e32 v32, v20
	v_sub_f32_e32 v25, v23, v25
	v_sub_f32_e32 v25, v21, v25
	v_add_f32_e32 v33, v33, v25
	v_pk_add_f32 v[20:21], v[22:23], v[20:21] neg_lo:[0,1] neg_hi:[0,1]
	v_pk_add_f32 v[44:45], v[22:23], v[32:33]
	v_mov_b32_e32 v25, v22
	v_mov_b32_e32 v21, v45
	v_pk_add_f32 v[56:57], v[24:25], v[20:21] neg_lo:[0,1] neg_hi:[0,1]
	v_pk_add_f32 v[20:21], v[24:25], v[20:21]
	v_mov_b32_e32 v32, v33
	v_pk_add_f32 v[24:25], v[20:21], v[22:23] op_sel:[1,0] op_sel_hi:[0,1] neg_lo:[0,1] neg_hi:[0,1]
	v_pk_add_f32 v[58:59], v[44:45], v[24:25] op_sel_hi:[1,0] neg_lo:[0,1] neg_hi:[0,1]
	v_mov_b32_e32 v44, v45
	v_mov_b32_e32 v45, v21
	v_pk_mov_b32 v[24:25], v[22:23], v[24:25] op_sel:[1,0]
	v_mov_b32_e32 v33, v22
	v_pk_add_f32 v[24:25], v[44:45], v[24:25] neg_lo:[0,1] neg_hi:[0,1]
	v_mov_b32_e32 v58, v56
	v_pk_add_f32 v[22:23], v[32:33], v[24:25] neg_lo:[0,1] neg_hi:[0,1]
	v_mov_b32_e32 v57, v21
	v_pk_add_f32 v[24:25], v[58:59], v[22:23]
	v_cmp_neq_f32_e64 s[0:1], s3, v1
	v_pk_add_f32 v[32:33], v[24:25], v[24:25] op_sel:[0,1] op_sel_hi:[1,0]
	s_nop 0
	v_pk_add_f32 v[20:21], v[20:21], v[32:33] op_sel:[1,0] op_sel_hi:[0,1]
	v_mov_b32_e32 v25, v20
	v_pk_add_f32 v[44:45], v[24:25], v[56:57] neg_lo:[0,1] neg_hi:[0,1]
	v_mov_b32_e32 v23, v32
	v_sub_f32_e32 v21, v24, v44
	v_pk_add_f32 v[22:23], v[22:23], v[44:45] neg_lo:[0,1] neg_hi:[0,1]
	v_sub_f32_e32 v21, v56, v21
	v_add_f32_e32 v21, v22, v21
	v_add_f32_e32 v21, v21, v23
	;; [unrolled: 1-line block ×3, first 2 shown]
	v_cndmask_b32_e64 v20, v60, v20, s[0:1]
	s_mov_b32 s0, 0x33800000
	v_cmp_gt_f32_e64 s[0:1], s0, v1
	s_nop 1
	v_cndmask_b32_e64 v59, v20, v1, s[0:1]
.LBB9_8:
	s_or_b64 exec, exec, s[14:15]
	s_ashr_i32 s22, s22, 2
	s_ashr_i32 s23, s22, 31
	v_lshl_add_u64 v[56:57], s[22:23], 2, v[18:19]
	global_load_dword v58, v[56:57], off
	v_mul_f32_e32 v32, v59, v14
	s_mov_b32 s15, 0x3fb8aa3b
	v_mul_f32_e32 v33, v59, v15
	v_mul_f32_e32 v75, 0x3fb8aa3b, v32
	v_mul_f32_e32 v44, v59, v16
	v_mul_f32_e32 v80, 0x3fb8aa3b, v33
	v_fma_f32 v84, v32, s15, -v75
	v_rndne_f32_e32 v85, v75
	v_mul_f32_e32 v45, v59, v17
	v_mul_f32_e32 v81, 0x3fb8aa3b, v44
	v_fma_f32 v86, v33, s15, -v80
	v_rndne_f32_e32 v87, v80
	v_fmac_f32_e32 v84, 0x32a5705f, v32
	v_sub_f32_e32 v75, v75, v85
	v_mul_f32_e32 v82, 0x3fb8aa3b, v45
	v_fma_f32 v88, v44, s15, -v81
	v_rndne_f32_e32 v89, v81
	v_fmac_f32_e32 v86, 0x32a5705f, v33
	v_sub_f32_e32 v80, v80, v87
	v_add_f32_e32 v75, v75, v84
	v_fma_f32 v90, v45, s15, -v82
	v_rndne_f32_e32 v91, v82
	v_fmac_f32_e32 v88, 0x32a5705f, v44
	v_sub_f32_e32 v81, v81, v89
	v_cvt_i32_f32_e32 v85, v85
	v_add_f32_e32 v80, v80, v86
	v_exp_f32_e32 v75, v75
	v_fmac_f32_e32 v90, 0x32a5705f, v45
	v_sub_f32_e32 v82, v82, v91
	v_cvt_i32_f32_e32 v87, v87
	v_add_f32_e32 v81, v81, v88
	v_exp_f32_e32 v80, v80
	v_cvt_i32_f32_e32 v89, v89
	v_add_f32_e32 v82, v82, v90
	v_exp_f32_e32 v81, v81
	s_mov_b32 s3, 0xc2ce8ed0
	v_cvt_i32_f32_e32 v91, v91
	v_exp_f32_e32 v82, v82
	v_ldexp_f32 v75, v75, v85
	v_cmp_ngt_f32_e64 s[0:1], s3, v32
	v_ldexp_f32 v80, v80, v87
	v_ldexp_f32 v81, v81, v89
	v_cndmask_b32_e64 v75, 0, v75, s[0:1]
	v_cmp_ngt_f32_e64 s[0:1], s3, v33
	s_mov_b32 s14, 0x42b17218
	v_mov_b32_e32 v72, 0
	v_cndmask_b32_e64 v80, 0, v80, s[0:1]
	v_cmp_ngt_f32_e64 s[0:1], s3, v44
	v_ldexp_f32 v82, v82, v91
	v_mov_b32_e32 v1, 0x7f800000
	v_cndmask_b32_e64 v81, 0, v81, s[0:1]
	v_cmp_ngt_f32_e64 s[0:1], s3, v45
	ds_read_b128 v[60:63], v72
	ds_read_b128 v[64:67], v72 offset:16
	v_cndmask_b32_e64 v82, 0, v82, s[0:1]
	v_cmp_nlt_f32_e64 s[0:1], s14, v32
	v_mul_f32_e32 v73, v59, v10
	v_mul_f32_e32 v83, 0x3fb8aa3b, v73
	v_cndmask_b32_e64 v32, v1, v75, s[0:1]
	v_cmp_nlt_f32_e64 s[0:1], s14, v33
	v_fma_f32 v92, v73, s15, -v83
	v_rndne_f32_e32 v93, v83
	v_cndmask_b32_e64 v33, v1, v80, s[0:1]
	v_cmp_nlt_f32_e64 s[0:1], s14, v44
	v_fmac_f32_e32 v92, 0x32a5705f, v73
	v_sub_f32_e32 v83, v83, v93
	v_cndmask_b32_e64 v44, v1, v81, s[0:1]
	v_cmp_nlt_f32_e64 s[0:1], s14, v45
	v_add_f32_e32 v83, v83, v92
	v_exp_f32_e32 v83, v83
	v_cndmask_b32_e64 v45, v1, v82, s[0:1]
	v_cmp_ngt_f32_e64 s[0:1], s3, v73
	ds_read_b128 v[22:25], v72 offset:32
	ds_read_b128 v[18:21], v72 offset:48
	;; [unrolled: 1-line block ×4, first 2 shown]
	s_mov_b32 s16, 0
	s_mov_b32 s17, s10
	s_waitcnt vmcnt(0)
	v_mul_f32_e32 v58, v59, v58
	s_waitcnt lgkmcnt(5)
	v_pk_mul_f32 v[60:61], v[58:59], v[60:61] op_sel_hi:[0,1]
	v_pk_mul_f32 v[62:63], v[58:59], v[62:63] op_sel_hi:[0,1]
	v_pk_fma_f32 v[32:33], v[40:41], v[32:33], v[60:61]
	v_pk_fma_f32 v[40:41], v[42:43], v[44:45], v[62:63]
	v_mul_f32_e32 v43, v59, v11
	v_mul_f32_e32 v44, 0x3fb8aa3b, v43
	v_fma_f32 v45, v43, s15, -v44
	v_rndne_f32_e32 v61, v44
	v_cvt_i32_f32_e32 v42, v93
	v_fmac_f32_e32 v45, 0x32a5705f, v43
	v_sub_f32_e32 v44, v44, v61
	v_add_f32_e32 v44, v44, v45
	v_exp_f32_e32 v44, v44
	v_cvt_i32_f32_e32 v45, v61
	v_ldexp_f32 v42, v83, v42
	v_cndmask_b32_e64 v42, 0, v42, s[0:1]
	v_cmp_nlt_f32_e64 s[0:1], s14, v73
	v_ldexp_f32 v44, v44, v45
	s_waitcnt lgkmcnt(1)
	v_fma_f32 v60, v68, v32, 0
	v_cndmask_b32_e64 v42, v1, v42, s[0:1]
	v_cmp_ngt_f32_e64 s[0:1], s3, v43
	v_fmac_f32_e32 v60, v69, v33
	v_fmac_f32_e32 v60, v70, v40
	v_cndmask_b32_e64 v44, 0, v44, s[0:1]
	v_cmp_nlt_f32_e64 s[0:1], s14, v43
	v_fmac_f32_e32 v60, v71, v41
	v_pk_mul_f32 v[22:23], v[58:59], v[22:23] op_sel_hi:[0,1]
	v_cndmask_b32_e64 v43, v1, v44, s[0:1]
	v_pk_mul_f32 v[44:45], v[58:59], v[64:65] op_sel_hi:[0,1]
	v_pk_fma_f32 v[42:43], v[26:27], v[42:43], v[44:45]
	v_mul_f32_e32 v44, v59, v12
	v_mul_f32_e32 v26, 0x3fb8aa3b, v44
	v_fma_f32 v27, v44, s15, -v26
	v_rndne_f32_e32 v45, v26
	v_fmac_f32_e32 v27, 0x32a5705f, v44
	v_sub_f32_e32 v26, v26, v45
	v_add_f32_e32 v26, v26, v27
	v_exp_f32_e32 v61, v26
	v_cvt_i32_f32_e32 v45, v45
	s_waitcnt lgkmcnt(0)
	v_pk_mul_f32 v[26:27], v[76:77], v[42:43]
	v_cmp_ngt_f32_e64 s[0:1], s3, v44
	v_add_f32_e32 v26, v60, v26
	v_add_f32_e32 v60, v26, v27
	v_mul_f32_e32 v27, v59, v13
	v_ldexp_f32 v26, v61, v45
	v_mul_f32_e32 v45, 0x3fb8aa3b, v27
	v_fma_f32 v61, v27, s15, -v45
	v_rndne_f32_e32 v62, v45
	v_fmac_f32_e32 v61, 0x32a5705f, v27
	v_sub_f32_e32 v45, v45, v62
	v_add_f32_e32 v45, v45, v61
	v_exp_f32_e32 v45, v45
	v_cvt_i32_f32_e32 v61, v62
	v_cndmask_b32_e64 v26, 0, v26, s[0:1]
	v_cmp_nlt_f32_e64 s[0:1], s14, v44
	v_mul_f32_e32 v65, v59, v8
	v_ldexp_f32 v44, v45, v61
	v_cndmask_b32_e64 v26, v1, v26, s[0:1]
	v_cmp_ngt_f32_e64 s[0:1], s3, v27
	v_pk_mul_f32 v[24:25], v[58:59], v[24:25] op_sel_hi:[0,1]
	v_pk_mul_f32 v[18:19], v[58:59], v[18:19] op_sel_hi:[0,1]
	v_cndmask_b32_e64 v44, 0, v44, s[0:1]
	v_cmp_nlt_f32_e64 s[0:1], s14, v27
	v_pk_mul_f32 v[20:21], v[58:59], v[20:21] op_sel_hi:[0,1]
	s_nop 0
	v_cndmask_b32_e64 v27, v1, v44, s[0:1]
	v_pk_mul_f32 v[44:45], v[58:59], v[66:67] op_sel_hi:[0,1]
	v_pk_fma_f32 v[44:45], v[28:29], v[26:27], v[44:45]
	v_mul_f32_e32 v28, v59, v6
	v_mul_f32_e32 v26, 0x3fb8aa3b, v28
	v_fma_f32 v27, v28, s15, -v26
	v_rndne_f32_e32 v29, v26
	v_fmac_f32_e32 v27, 0x32a5705f, v28
	v_sub_f32_e32 v26, v26, v29
	v_add_f32_e32 v26, v26, v27
	v_exp_f32_e32 v61, v26
	v_cvt_i32_f32_e32 v29, v29
	v_pk_mul_f32 v[26:27], v[78:79], v[44:45]
	v_cmp_ngt_f32_e64 s[0:1], s3, v28
	v_add_f32_e32 v26, v60, v26
	v_add_f32_e32 v64, v26, v27
	v_mul_f32_e32 v27, v59, v7
	v_ldexp_f32 v26, v61, v29
	v_mul_f32_e32 v29, 0x3fb8aa3b, v27
	v_fma_f32 v60, v27, s15, -v29
	v_rndne_f32_e32 v61, v29
	v_fmac_f32_e32 v60, 0x32a5705f, v27
	v_sub_f32_e32 v29, v29, v61
	v_add_f32_e32 v29, v29, v60
	v_exp_f32_e32 v29, v29
	v_cvt_i32_f32_e32 v60, v61
	v_cndmask_b32_e64 v26, 0, v26, s[0:1]
	v_cmp_nlt_f32_e64 s[0:1], s14, v28
	v_ldexp_f32 v28, v29, v60
	s_nop 0
	v_cndmask_b32_e64 v26, v1, v26, s[0:1]
	v_cmp_ngt_f32_e64 s[0:1], s3, v27
	s_nop 1
	v_cndmask_b32_e64 v28, 0, v28, s[0:1]
	v_cmp_nlt_f32_e64 s[0:1], s14, v27
	s_nop 1
	v_cndmask_b32_e64 v27, v1, v28, s[0:1]
	v_pk_fma_f32 v[46:47], v[46:47], v[26:27], v[22:23]
	ds_read_b128 v[26:29], v72 offset:96
	v_mul_f32_e32 v22, 0x3fb8aa3b, v65
	v_fma_f32 v23, v65, s15, -v22
	v_rndne_f32_e32 v60, v22
	v_fmac_f32_e32 v23, 0x32a5705f, v65
	v_sub_f32_e32 v22, v22, v60
	v_add_f32_e32 v22, v22, v23
	v_exp_f32_e32 v66, v22
	v_cvt_i32_f32_e32 v67, v60
	ds_read_b128 v[60:63], v72 offset:112
	s_waitcnt lgkmcnt(1)
	v_pk_mul_f32 v[22:23], v[26:27], v[46:47]
	v_cmp_ngt_f32_e64 s[0:1], s3, v65
	v_add_f32_e32 v22, v64, v22
	v_add_f32_e32 v26, v22, v23
	v_mul_f32_e32 v23, v59, v9
	v_mul_f32_e32 v27, 0x3fb8aa3b, v23
	v_ldexp_f32 v22, v66, v67
	v_fma_f32 v64, v23, s15, -v27
	v_rndne_f32_e32 v66, v27
	v_fmac_f32_e32 v64, 0x32a5705f, v23
	v_sub_f32_e32 v27, v27, v66
	v_add_f32_e32 v27, v27, v64
	v_exp_f32_e32 v27, v27
	v_cvt_i32_f32_e32 v64, v66
	v_cndmask_b32_e64 v22, 0, v22, s[0:1]
	v_cmp_nlt_f32_e64 s[0:1], s14, v65
	v_ldexp_f32 v27, v27, v64
	s_nop 0
	v_cndmask_b32_e64 v22, v1, v22, s[0:1]
	v_cmp_ngt_f32_e64 s[0:1], s3, v23
	s_nop 1
	v_cndmask_b32_e64 v27, 0, v27, s[0:1]
	v_cmp_nlt_f32_e64 s[0:1], s14, v23
	s_nop 1
	v_cndmask_b32_e64 v23, v1, v27, s[0:1]
	v_pk_fma_f32 v[48:49], v[48:49], v[22:23], v[24:25]
	v_mul_f32_e32 v24, v59, v2
	v_mul_f32_e32 v22, 0x3fb8aa3b, v24
	v_fma_f32 v23, v24, s15, -v22
	v_rndne_f32_e32 v25, v22
	v_fmac_f32_e32 v23, 0x32a5705f, v24
	v_sub_f32_e32 v22, v22, v25
	v_add_f32_e32 v22, v22, v23
	v_exp_f32_e32 v27, v22
	v_cvt_i32_f32_e32 v25, v25
	v_pk_mul_f32 v[22:23], v[28:29], v[48:49]
	v_cmp_ngt_f32_e64 s[0:1], s3, v24
	v_add_f32_e32 v22, v26, v22
	v_add_f32_e32 v26, v22, v23
	v_mul_f32_e32 v23, v59, v3
	v_ldexp_f32 v22, v27, v25
	v_mul_f32_e32 v25, 0x3fb8aa3b, v23
	v_fma_f32 v27, v23, s15, -v25
	v_rndne_f32_e32 v28, v25
	v_fmac_f32_e32 v27, 0x32a5705f, v23
	v_sub_f32_e32 v25, v25, v28
	v_add_f32_e32 v25, v25, v27
	v_exp_f32_e32 v25, v25
	v_cvt_i32_f32_e32 v27, v28
	v_cndmask_b32_e64 v22, 0, v22, s[0:1]
	v_cmp_nlt_f32_e64 s[0:1], s14, v24
	v_ldexp_f32 v24, v25, v27
	s_nop 0
	v_cndmask_b32_e64 v22, v1, v22, s[0:1]
	v_cmp_ngt_f32_e64 s[0:1], s3, v23
	s_nop 1
	v_cndmask_b32_e64 v24, 0, v24, s[0:1]
	v_cmp_nlt_f32_e64 s[0:1], s14, v23
	s_nop 1
	v_cndmask_b32_e64 v23, v1, v24, s[0:1]
	v_pk_fma_f32 v[50:51], v[50:51], v[22:23], v[18:19]
	v_mul_f32_e32 v22, v59, v4
	v_mul_f32_e32 v18, 0x3fb8aa3b, v22
	v_fma_f32 v19, v22, s15, -v18
	v_rndne_f32_e32 v23, v18
	v_fmac_f32_e32 v19, 0x32a5705f, v22
	v_sub_f32_e32 v18, v18, v23
	v_add_f32_e32 v18, v18, v19
	v_exp_f32_e32 v24, v18
	v_cvt_i32_f32_e32 v23, v23
	s_waitcnt lgkmcnt(0)
	v_pk_mul_f32 v[18:19], v[60:61], v[50:51]
	v_cmp_ngt_f32_e64 s[0:1], s3, v22
	v_add_f32_e32 v18, v26, v18
	v_add_f32_e32 v25, v18, v19
	v_mul_f32_e32 v19, v59, v5
	v_ldexp_f32 v18, v24, v23
	v_mul_f32_e32 v23, 0x3fb8aa3b, v19
	v_fma_f32 v24, v19, s15, -v23
	v_rndne_f32_e32 v26, v23
	v_fmac_f32_e32 v24, 0x32a5705f, v19
	v_sub_f32_e32 v23, v23, v26
	v_add_f32_e32 v23, v23, v24
	v_exp_f32_e32 v23, v23
	v_cvt_i32_f32_e32 v24, v26
	v_cndmask_b32_e64 v18, 0, v18, s[0:1]
	v_cmp_nlt_f32_e64 s[0:1], s14, v22
	v_ldexp_f32 v22, v23, v24
	s_nop 0
	v_cndmask_b32_e64 v18, v1, v18, s[0:1]
	v_cmp_ngt_f32_e64 s[0:1], s3, v19
	s_nop 1
	v_cndmask_b32_e64 v22, 0, v22, s[0:1]
	v_cmp_nlt_f32_e64 s[0:1], s14, v19
	s_nop 1
	v_cndmask_b32_e64 v19, v1, v22, s[0:1]
	v_pk_fma_f32 v[52:53], v[52:53], v[18:19], v[20:21]
	s_ashr_i64 s[0:1], s[16:17], 30
	v_pk_mul_f32 v[18:19], v[62:63], v[52:53]
	s_nop 0
	v_add_f32_e32 v1, v25, v18
	v_add_f32_e32 v1, v1, v19
	v_lshl_add_u64 v[18:19], v[30:31], 0, s[0:1]
	global_store_dword v[18:19], v1, off
	s_barrier
	s_and_saveexec_b64 s[0:1], vcc
	s_cbranch_execz .LBB9_10
; %bb.9:
	v_lshl_add_u64 v[18:19], s[4:5], 3, v[38:39]
	global_load_dword v1, v[18:19], off
	v_lshl_add_u64 v[18:19], s[6:7], 3, v[36:37]
	global_load_dword v18, v[18:19], off
	s_waitcnt vmcnt(1)
	ds_write_b32 v0, v1
	s_waitcnt vmcnt(0)
	ds_write_b32 v74, v18
.LBB9_10:
	s_or_b64 exec, exec, s[0:1]
	s_lshl_b64 s[14:15], s[12:13], 2
	v_lshl_add_u64 v[54:55], v[54:55], 0, s[14:15]
	s_waitcnt lgkmcnt(0)
	s_barrier
	global_load_dword v1, v[54:55], off
	s_mov_b32 s0, 0x41a00000
	s_waitcnt vmcnt(0)
	v_cmp_ge_f32_e64 s[0:1], s0, v1
	s_and_saveexec_b64 s[12:13], s[0:1]
	s_cbranch_execz .LBB9_12
; %bb.11:
	v_mul_f32_e32 v18, 0x3fb8aa3b, v1
	s_mov_b32 s0, 0x3fb8aa3b
	v_rndne_f32_e32 v19, v18
	v_sub_f32_e32 v20, v18, v19
	v_fma_f32 v18, v1, s0, -v18
	v_fmamk_f32 v18, v1, 0x32a5705f, v18
	v_add_f32_e32 v18, v20, v18
	v_exp_f32_e32 v18, v18
	v_cvt_i32_f32_e32 v19, v19
	s_mov_b32 s0, 0xc2ce8ed0
	v_cmp_ngt_f32_e64 s[0:1], s0, v1
	v_mov_b32_e32 v60, 0x7f800000
	v_ldexp_f32 v18, v18, v19
	v_cndmask_b32_e64 v18, 0, v18, s[0:1]
	s_mov_b32 s0, 0x42b17218
	v_cmp_nlt_f32_e64 s[0:1], s0, v1
	s_mov_b32 s3, 0x7f800000
	s_nop 0
	v_cndmask_b32_e64 v1, v60, v18, s[0:1]
	v_add_f32_e32 v20, 1.0, v1
	v_add_f32_e32 v18, -1.0, v20
	v_sub_f32_e32 v19, v18, v20
	v_add_f32_e32 v19, 1.0, v19
	v_sub_f32_e32 v18, v1, v18
	v_add_f32_e32 v21, v18, v19
	v_frexp_mant_f32_e32 v22, v20
	s_mov_b32 s0, 0x3f2aaaab
	v_cvt_f64_f32_e32 v[18:19], v20
	v_frexp_exp_i32_f64_e32 v18, v[18:19]
	v_cmp_gt_f32_e64 s[0:1], s0, v22
	s_nop 1
	v_subbrev_co_u32_e64 v26, s[0:1], 0, v18, s[0:1]
	v_sub_u32_e32 v18, 0, v26
	v_ldexp_f32 v19, v20, v18
	v_add_f32_e32 v20, -1.0, v19
	v_add_f32_e32 v22, 1.0, v19
	v_ldexp_f32 v18, v21, v18
	v_add_f32_e32 v21, 1.0, v20
	v_add_f32_e32 v23, -1.0, v22
	v_sub_f32_e32 v21, v19, v21
	v_sub_f32_e32 v19, v19, v23
	v_add_f32_e32 v21, v18, v21
	v_add_f32_e32 v18, v18, v19
	;; [unrolled: 1-line block ×3, first 2 shown]
	v_rcp_f32_e32 v29, v27
	v_sub_f32_e32 v19, v22, v27
	v_add_f32_e32 v28, v18, v19
	v_add_f32_e32 v19, v20, v21
	v_mul_f32_e32 v59, v19, v29
	v_sub_f32_e32 v18, v20, v19
	v_mul_f32_e32 v20, v27, v59
	v_fma_f32 v22, v59, v27, -v20
	v_fmac_f32_e32 v22, v59, v28
	v_add_f32_e32 v58, v21, v18
	v_add_f32_e32 v18, v20, v22
	v_sub_f32_e32 v21, v19, v18
	v_pk_add_f32 v[24:25], v[18:19], v[20:21] neg_lo:[0,1] neg_hi:[0,1]
	v_mov_b32_e32 v23, v18
	v_pk_add_f32 v[18:19], v[24:25], v[22:23] neg_lo:[0,1] neg_hi:[0,1]
	s_mov_b32 s0, 0x3f317218
	v_add_f32_e32 v19, v58, v19
	v_add_f32_e32 v18, v18, v19
	;; [unrolled: 1-line block ×3, first 2 shown]
	v_mul_f32_e32 v58, v29, v19
	v_mul_f32_e32 v20, v27, v58
	v_fma_f32 v22, v58, v27, -v20
	v_fmac_f32_e32 v22, v58, v28
	v_sub_f32_e32 v21, v21, v19
	v_add_f32_e32 v27, v18, v21
	v_add_f32_e32 v18, v20, v22
	v_sub_f32_e32 v21, v19, v18
	v_pk_add_f32 v[24:25], v[18:19], v[20:21] neg_lo:[0,1] neg_hi:[0,1]
	v_mov_b32_e32 v23, v18
	v_pk_add_f32 v[18:19], v[24:25], v[22:23] neg_lo:[0,1] neg_hi:[0,1]
	v_cvt_f32_i32_e32 v20, v26
	v_add_f32_e32 v19, v27, v19
	v_add_f32_e32 v18, v18, v19
	;; [unrolled: 1-line block ×4, first 2 shown]
	v_sub_f32_e32 v19, v21, v59
	v_mul_f32_e32 v18, v29, v18
	v_sub_f32_e32 v19, v58, v19
	v_add_f32_e32 v18, v19, v18
	v_add_f32_e32 v22, v21, v18
	v_mul_f32_e32 v24, v22, v22
	v_mov_b32_e32 v19, 0x3ecc95a3
	v_sub_f32_e32 v21, v22, v21
	v_fmac_f32_e32 v19, 0x3e9b6dac, v24
	v_sub_f32_e32 v18, v18, v21
	v_fmaak_f32 v19, v24, v19, 0x3f2aaada
	v_ldexp_f32 v25, v18, 1
	v_mul_f32_e32 v21, v22, v24
	v_mov_b32_e32 v18, 0x3f317218
	v_pk_mul_f32 v[18:19], v[20:21], v[18:19]
	v_ldexp_f32 v23, v22, 1
	v_fma_f32 v21, v20, s0, -v18
	v_fmamk_f32 v22, v20, 0xb102e308, v21
	v_pk_add_f32 v[20:21], v[18:19], v[22:23]
	v_mov_b32_e32 v24, v18
	v_sub_f32_e32 v23, v21, v23
	v_sub_f32_e32 v23, v19, v23
	v_add_f32_e32 v25, v25, v23
	v_pk_add_f32 v[18:19], v[20:21], v[18:19] neg_lo:[0,1] neg_hi:[0,1]
	v_pk_add_f32 v[26:27], v[20:21], v[24:25]
	v_mov_b32_e32 v23, v20
	v_mov_b32_e32 v19, v27
	v_pk_add_f32 v[28:29], v[22:23], v[18:19] neg_lo:[0,1] neg_hi:[0,1]
	v_pk_add_f32 v[18:19], v[22:23], v[18:19]
	v_mov_b32_e32 v24, v25
	v_pk_add_f32 v[22:23], v[18:19], v[20:21] op_sel:[1,0] op_sel_hi:[0,1] neg_lo:[0,1] neg_hi:[0,1]
	v_pk_add_f32 v[58:59], v[26:27], v[22:23] op_sel_hi:[1,0] neg_lo:[0,1] neg_hi:[0,1]
	v_mov_b32_e32 v26, v27
	v_mov_b32_e32 v27, v19
	v_pk_mov_b32 v[22:23], v[20:21], v[22:23] op_sel:[1,0]
	v_mov_b32_e32 v25, v20
	v_pk_add_f32 v[22:23], v[26:27], v[22:23] neg_lo:[0,1] neg_hi:[0,1]
	v_mov_b32_e32 v58, v28
	v_pk_add_f32 v[20:21], v[24:25], v[22:23] neg_lo:[0,1] neg_hi:[0,1]
	v_mov_b32_e32 v29, v19
	v_pk_add_f32 v[22:23], v[58:59], v[20:21]
	v_cmp_neq_f32_e64 s[0:1], s3, v1
	v_pk_add_f32 v[24:25], v[22:23], v[22:23] op_sel:[0,1] op_sel_hi:[1,0]
	s_nop 0
	v_pk_add_f32 v[18:19], v[18:19], v[24:25] op_sel:[1,0] op_sel_hi:[0,1]
	v_mov_b32_e32 v23, v18
	v_pk_add_f32 v[26:27], v[22:23], v[28:29] neg_lo:[0,1] neg_hi:[0,1]
	v_mov_b32_e32 v21, v24
	v_sub_f32_e32 v19, v22, v26
	v_pk_add_f32 v[20:21], v[20:21], v[26:27] neg_lo:[0,1] neg_hi:[0,1]
	v_sub_f32_e32 v19, v28, v19
	v_add_f32_e32 v19, v20, v19
	v_add_f32_e32 v19, v19, v21
	;; [unrolled: 1-line block ×3, first 2 shown]
	v_cndmask_b32_e64 v18, v60, v18, s[0:1]
	s_mov_b32 s0, 0x33800000
	v_cmp_gt_f32_e64 s[0:1], s0, v1
	s_nop 1
	v_cndmask_b32_e64 v1, v18, v1, s[0:1]
.LBB9_12:
	s_or_b64 exec, exec, s[12:13]
	s_lshl_b64 s[12:13], s[22:23], 2
	v_lshl_add_u64 v[56:57], v[56:57], 0, s[12:13]
	global_load_dword v58, v[56:57], off
	v_mul_f32_e32 v72, v1, v14
	s_mov_b32 s22, 0x3fb8aa3b
	v_mul_f32_e32 v73, v1, v15
	v_mul_f32_e32 v79, 0x3fb8aa3b, v72
	v_mul_f32_e32 v76, v1, v16
	v_mul_f32_e32 v80, 0x3fb8aa3b, v73
	v_fma_f32 v84, v72, s22, -v79
	v_rndne_f32_e32 v85, v79
	v_mul_f32_e32 v77, v1, v17
	v_mul_f32_e32 v81, 0x3fb8aa3b, v76
	v_fma_f32 v86, v73, s22, -v80
	v_rndne_f32_e32 v87, v80
	v_fmac_f32_e32 v84, 0x32a5705f, v72
	v_sub_f32_e32 v79, v79, v85
	v_mul_f32_e32 v82, 0x3fb8aa3b, v77
	v_fma_f32 v88, v76, s22, -v81
	v_rndne_f32_e32 v90, v81
	v_fmac_f32_e32 v86, 0x32a5705f, v73
	v_sub_f32_e32 v80, v80, v87
	v_add_f32_e32 v79, v79, v84
	v_fma_f32 v89, v77, s22, -v82
	v_rndne_f32_e32 v91, v82
	v_fmac_f32_e32 v88, 0x32a5705f, v76
	v_sub_f32_e32 v81, v81, v90
	v_cvt_i32_f32_e32 v85, v85
	v_add_f32_e32 v80, v80, v86
	v_exp_f32_e32 v79, v79
	v_fmac_f32_e32 v89, 0x32a5705f, v77
	v_cvt_i32_f32_e32 v87, v87
	v_sub_f32_e32 v82, v82, v91
	v_add_f32_e32 v81, v81, v88
	v_exp_f32_e32 v80, v80
	v_cvt_i32_f32_e32 v90, v90
	v_add_f32_e32 v82, v82, v89
	v_exp_f32_e32 v81, v81
	s_mov_b32 s3, 0xc2ce8ed0
	v_cvt_i32_f32_e32 v91, v91
	v_exp_f32_e32 v82, v82
	v_ldexp_f32 v79, v79, v85
	v_cmp_ngt_f32_e64 s[0:1], s3, v72
	v_ldexp_f32 v80, v80, v87
	v_ldexp_f32 v81, v81, v90
	v_cndmask_b32_e64 v79, 0, v79, s[0:1]
	v_cmp_ngt_f32_e64 s[0:1], s3, v73
	v_mov_b32_e32 v75, 0
	v_ldexp_f32 v82, v82, v91
	v_cndmask_b32_e64 v80, 0, v80, s[0:1]
	v_cmp_ngt_f32_e64 s[0:1], s3, v76
	v_mov_b32_e32 v59, 0x7f800000
	ds_read_b128 v[60:63], v75
	ds_read_b128 v[26:29], v75 offset:16
	ds_read_b128 v[22:25], v75 offset:32
	ds_read_b128 v[18:21], v75 offset:48
	v_cndmask_b32_e64 v81, 0, v81, s[0:1]
	v_cmp_ngt_f32_e64 s[0:1], s3, v77
	v_mul_f32_e32 v78, v1, v10
	ds_read_b128 v[64:67], v75 offset:64
	ds_read_b128 v[68:71], v75 offset:80
	v_cndmask_b32_e64 v82, 0, v82, s[0:1]
	v_cmp_nlt_f32_e64 s[0:1], s20, v72
	v_mul_f32_e32 v83, 0x3fb8aa3b, v78
	v_fma_f32 v92, v78, s22, -v83
	v_cndmask_b32_e64 v72, v59, v79, s[0:1]
	v_cmp_nlt_f32_e64 s[0:1], s20, v73
	v_rndne_f32_e32 v93, v83
	v_fmac_f32_e32 v92, 0x32a5705f, v78
	v_cndmask_b32_e64 v73, v59, v80, s[0:1]
	v_cmp_nlt_f32_e64 s[0:1], s20, v76
	v_sub_f32_e32 v83, v83, v93
	v_add_f32_e32 v83, v83, v92
	v_cndmask_b32_e64 v76, v59, v81, s[0:1]
	v_cmp_nlt_f32_e64 s[0:1], s20, v77
	v_cvt_i32_f32_e32 v93, v93
	v_exp_f32_e32 v83, v83
	v_cndmask_b32_e64 v77, v59, v82, s[0:1]
	v_cmp_ngt_f32_e64 s[0:1], s3, v78
	v_ldexp_f32 v83, v83, v93
	s_waitcnt vmcnt(0)
	v_mul_f32_e32 v58, v1, v58
	s_waitcnt lgkmcnt(5)
	v_pk_mul_f32 v[60:61], v[58:59], v[60:61] op_sel_hi:[0,1]
	v_pk_fma_f32 v[32:33], v[32:33], v[72:73], v[60:61]
	v_mul_f32_e32 v61, v1, v11
	v_pk_mul_f32 v[62:63], v[58:59], v[62:63] op_sel_hi:[0,1]
	v_mul_f32_e32 v60, 0x3fb8aa3b, v61
	v_pk_fma_f32 v[40:41], v[40:41], v[76:77], v[62:63]
	s_waitcnt lgkmcnt(1)
	v_fma_f32 v62, v64, v32, 0
	v_fma_f32 v63, v61, s22, -v60
	v_rndne_f32_e32 v64, v60
	v_fmac_f32_e32 v63, 0x32a5705f, v61
	v_sub_f32_e32 v60, v60, v64
	v_add_f32_e32 v60, v60, v63
	v_exp_f32_e32 v63, v60
	v_cvt_i32_f32_e32 v64, v64
	v_cndmask_b32_e64 v60, 0, v83, s[0:1]
	v_cmp_nlt_f32_e64 s[0:1], s20, v78
	v_pk_mul_f32 v[26:27], v[58:59], v[26:27] op_sel_hi:[0,1]
	v_ldexp_f32 v63, v63, v64
	v_cndmask_b32_e64 v60, v59, v60, s[0:1]
	v_cmp_ngt_f32_e64 s[0:1], s3, v61
	v_fmac_f32_e32 v62, v65, v33
	v_fmac_f32_e32 v62, v66, v40
	v_cndmask_b32_e64 v63, 0, v63, s[0:1]
	v_cmp_nlt_f32_e64 s[0:1], s20, v61
	v_fmac_f32_e32 v62, v67, v41
	v_pk_mul_f32 v[28:29], v[58:59], v[28:29] op_sel_hi:[0,1]
	v_cndmask_b32_e64 v61, v59, v63, s[0:1]
	v_pk_fma_f32 v[42:43], v[42:43], v[60:61], v[26:27]
	v_mul_f32_e32 v60, v1, v12
	v_mul_f32_e32 v26, 0x3fb8aa3b, v60
	v_fma_f32 v27, v60, s22, -v26
	v_rndne_f32_e32 v61, v26
	v_fmac_f32_e32 v27, 0x32a5705f, v60
	v_sub_f32_e32 v26, v26, v61
	v_add_f32_e32 v26, v26, v27
	v_exp_f32_e32 v63, v26
	v_cvt_i32_f32_e32 v61, v61
	s_waitcnt lgkmcnt(0)
	v_pk_mul_f32 v[26:27], v[68:69], v[42:43]
	v_cmp_ngt_f32_e64 s[0:1], s3, v60
	v_add_f32_e32 v26, v62, v26
	v_add_f32_e32 v62, v26, v27
	v_mul_f32_e32 v27, v1, v13
	v_ldexp_f32 v26, v63, v61
	v_mul_f32_e32 v61, 0x3fb8aa3b, v27
	v_fma_f32 v63, v27, s22, -v61
	v_rndne_f32_e32 v64, v61
	v_fmac_f32_e32 v63, 0x32a5705f, v27
	v_sub_f32_e32 v61, v61, v64
	v_add_f32_e32 v61, v61, v63
	v_exp_f32_e32 v61, v61
	v_cvt_i32_f32_e32 v63, v64
	v_cndmask_b32_e64 v26, 0, v26, s[0:1]
	v_cmp_nlt_f32_e64 s[0:1], s20, v60
	v_pk_mul_f32 v[22:23], v[58:59], v[22:23] op_sel_hi:[0,1]
	v_ldexp_f32 v60, v61, v63
	v_cndmask_b32_e64 v26, v59, v26, s[0:1]
	v_cmp_ngt_f32_e64 s[0:1], s3, v27
	v_mul_f32_e32 v65, v1, v8
	v_pk_mul_f32 v[24:25], v[58:59], v[24:25] op_sel_hi:[0,1]
	v_cndmask_b32_e64 v60, 0, v60, s[0:1]
	v_cmp_nlt_f32_e64 s[0:1], s20, v27
	v_pk_mul_f32 v[18:19], v[58:59], v[18:19] op_sel_hi:[0,1]
	v_pk_mul_f32 v[20:21], v[58:59], v[20:21] op_sel_hi:[0,1]
	v_cndmask_b32_e64 v27, v59, v60, s[0:1]
	v_pk_fma_f32 v[44:45], v[44:45], v[26:27], v[28:29]
	v_mul_f32_e32 v28, v1, v6
	v_mul_f32_e32 v26, 0x3fb8aa3b, v28
	v_fma_f32 v27, v28, s22, -v26
	v_rndne_f32_e32 v29, v26
	v_fmac_f32_e32 v27, 0x32a5705f, v28
	v_sub_f32_e32 v26, v26, v29
	v_add_f32_e32 v26, v26, v27
	v_exp_f32_e32 v60, v26
	v_cvt_i32_f32_e32 v29, v29
	v_pk_mul_f32 v[26:27], v[70:71], v[44:45]
	v_cmp_ngt_f32_e64 s[0:1], s3, v28
	v_add_f32_e32 v26, v62, v26
	v_add_f32_e32 v64, v26, v27
	v_mul_f32_e32 v27, v1, v7
	v_ldexp_f32 v26, v60, v29
	v_mul_f32_e32 v29, 0x3fb8aa3b, v27
	v_fma_f32 v60, v27, s22, -v29
	v_rndne_f32_e32 v61, v29
	v_fmac_f32_e32 v60, 0x32a5705f, v27
	v_sub_f32_e32 v29, v29, v61
	v_add_f32_e32 v29, v29, v60
	v_exp_f32_e32 v29, v29
	v_cvt_i32_f32_e32 v60, v61
	v_cndmask_b32_e64 v26, 0, v26, s[0:1]
	v_cmp_nlt_f32_e64 s[0:1], s20, v28
	v_ldexp_f32 v28, v29, v60
	s_nop 0
	v_cndmask_b32_e64 v26, v59, v26, s[0:1]
	v_cmp_ngt_f32_e64 s[0:1], s3, v27
	s_nop 1
	v_cndmask_b32_e64 v28, 0, v28, s[0:1]
	v_cmp_nlt_f32_e64 s[0:1], s20, v27
	s_nop 1
	v_cndmask_b32_e64 v27, v59, v28, s[0:1]
	v_pk_fma_f32 v[46:47], v[46:47], v[26:27], v[22:23]
	ds_read_b128 v[26:29], v75 offset:96
	v_mul_f32_e32 v22, 0x3fb8aa3b, v65
	v_fma_f32 v23, v65, s22, -v22
	v_rndne_f32_e32 v60, v22
	v_fmac_f32_e32 v23, 0x32a5705f, v65
	v_sub_f32_e32 v22, v22, v60
	v_add_f32_e32 v22, v22, v23
	v_exp_f32_e32 v66, v22
	v_cvt_i32_f32_e32 v67, v60
	ds_read_b128 v[60:63], v75 offset:112
	s_waitcnt lgkmcnt(1)
	v_pk_mul_f32 v[22:23], v[26:27], v[46:47]
	v_cmp_ngt_f32_e64 s[0:1], s3, v65
	v_add_f32_e32 v22, v64, v22
	v_add_f32_e32 v26, v22, v23
	v_mul_f32_e32 v23, v1, v9
	v_mul_f32_e32 v27, 0x3fb8aa3b, v23
	v_ldexp_f32 v22, v66, v67
	v_fma_f32 v64, v23, s22, -v27
	v_rndne_f32_e32 v66, v27
	v_fmac_f32_e32 v64, 0x32a5705f, v23
	v_sub_f32_e32 v27, v27, v66
	v_add_f32_e32 v27, v27, v64
	v_exp_f32_e32 v27, v27
	v_cvt_i32_f32_e32 v64, v66
	v_cndmask_b32_e64 v22, 0, v22, s[0:1]
	v_cmp_nlt_f32_e64 s[0:1], s20, v65
	v_ldexp_f32 v27, v27, v64
	s_nop 0
	v_cndmask_b32_e64 v22, v59, v22, s[0:1]
	v_cmp_ngt_f32_e64 s[0:1], s3, v23
	s_nop 1
	v_cndmask_b32_e64 v27, 0, v27, s[0:1]
	v_cmp_nlt_f32_e64 s[0:1], s20, v23
	s_nop 1
	v_cndmask_b32_e64 v23, v59, v27, s[0:1]
	v_pk_fma_f32 v[48:49], v[48:49], v[22:23], v[24:25]
	v_mul_f32_e32 v24, v1, v2
	v_mul_f32_e32 v22, 0x3fb8aa3b, v24
	v_fma_f32 v23, v24, s22, -v22
	v_rndne_f32_e32 v25, v22
	v_fmac_f32_e32 v23, 0x32a5705f, v24
	v_sub_f32_e32 v22, v22, v25
	v_add_f32_e32 v22, v22, v23
	v_exp_f32_e32 v27, v22
	v_cvt_i32_f32_e32 v25, v25
	v_pk_mul_f32 v[22:23], v[28:29], v[48:49]
	v_cmp_ngt_f32_e64 s[0:1], s3, v24
	v_add_f32_e32 v22, v26, v22
	v_add_f32_e32 v26, v22, v23
	v_mul_f32_e32 v23, v1, v3
	v_ldexp_f32 v22, v27, v25
	v_mul_f32_e32 v25, 0x3fb8aa3b, v23
	v_fma_f32 v27, v23, s22, -v25
	v_rndne_f32_e32 v28, v25
	v_fmac_f32_e32 v27, 0x32a5705f, v23
	v_sub_f32_e32 v25, v25, v28
	v_add_f32_e32 v25, v25, v27
	v_exp_f32_e32 v25, v25
	v_cvt_i32_f32_e32 v27, v28
	v_cndmask_b32_e64 v22, 0, v22, s[0:1]
	v_cmp_nlt_f32_e64 s[0:1], s20, v24
	v_ldexp_f32 v24, v25, v27
	s_nop 0
	v_cndmask_b32_e64 v22, v59, v22, s[0:1]
	v_cmp_ngt_f32_e64 s[0:1], s3, v23
	s_nop 1
	v_cndmask_b32_e64 v24, 0, v24, s[0:1]
	v_cmp_nlt_f32_e64 s[0:1], s20, v23
	s_nop 1
	v_cndmask_b32_e64 v23, v59, v24, s[0:1]
	v_pk_fma_f32 v[50:51], v[50:51], v[22:23], v[18:19]
	v_mul_f32_e32 v22, v1, v4
	v_mul_f32_e32 v18, 0x3fb8aa3b, v22
	v_fma_f32 v19, v22, s22, -v18
	v_rndne_f32_e32 v23, v18
	v_fmac_f32_e32 v19, 0x32a5705f, v22
	v_sub_f32_e32 v18, v18, v23
	v_add_f32_e32 v18, v18, v19
	v_exp_f32_e32 v24, v18
	v_cvt_i32_f32_e32 v23, v23
	s_waitcnt lgkmcnt(0)
	v_pk_mul_f32 v[18:19], v[60:61], v[50:51]
	v_mul_f32_e32 v1, v1, v5
	v_add_f32_e32 v18, v26, v18
	v_add_f32_e32 v25, v18, v19
	v_mul_f32_e32 v19, 0x3fb8aa3b, v1
	v_ldexp_f32 v18, v24, v23
	v_fma_f32 v23, v1, s22, -v19
	v_rndne_f32_e32 v24, v19
	v_fmac_f32_e32 v23, 0x32a5705f, v1
	v_sub_f32_e32 v19, v19, v24
	v_add_f32_e32 v19, v19, v23
	v_exp_f32_e32 v19, v19
	v_cvt_i32_f32_e32 v23, v24
	v_cmp_ngt_f32_e64 s[0:1], s3, v22
	v_ldexp_f32 v19, v19, v23
	s_nop 0
	v_cndmask_b32_e64 v18, 0, v18, s[0:1]
	v_cmp_nlt_f32_e64 s[0:1], s20, v22
	s_nop 1
	v_cndmask_b32_e64 v18, v59, v18, s[0:1]
	v_cmp_ngt_f32_e64 s[0:1], s3, v1
	s_nop 1
	v_cndmask_b32_e64 v19, 0, v19, s[0:1]
	v_cmp_nlt_f32_e64 s[0:1], s20, v1
	s_nop 1
	v_cndmask_b32_e64 v19, v59, v19, s[0:1]
	v_pk_fma_f32 v[52:53], v[52:53], v[18:19], v[20:21]
	s_ashr_i64 s[0:1], s[16:17], 29
	v_pk_mul_f32 v[18:19], v[62:63], v[52:53]
	s_nop 0
	v_add_f32_e32 v1, v25, v18
	v_add_f32_e32 v1, v1, v19
	v_lshl_add_u64 v[18:19], v[30:31], 0, s[0:1]
	global_store_dword v[18:19], v1, off
	s_barrier
	s_and_saveexec_b64 s[0:1], vcc
	s_cbranch_execz .LBB9_14
; %bb.13:
	v_mad_i64_i32 v[18:19], s[22:23], s4, 12, v[38:39]
	global_load_dword v1, v[18:19], off
	v_mad_i64_i32 v[18:19], s[22:23], s6, 12, v[36:37]
	global_load_dword v18, v[18:19], off
	s_waitcnt vmcnt(1)
	ds_write_b32 v0, v1
	s_waitcnt vmcnt(0)
	ds_write_b32 v74, v18
.LBB9_14:
	s_or_b64 exec, exec, s[0:1]
	v_lshl_add_u64 v[54:55], v[54:55], 0, s[14:15]
	s_waitcnt lgkmcnt(0)
	s_barrier
	global_load_dword v1, v[54:55], off
	s_mov_b32 s0, 0x41a00000
	s_bfe_i64 s[10:11], s[10:11], 0x200000
	s_waitcnt vmcnt(0)
	v_cmp_ge_f32_e64 s[0:1], s0, v1
	s_and_saveexec_b64 s[22:23], s[0:1]
	s_cbranch_execz .LBB9_16
; %bb.15:
	v_mul_f32_e32 v18, 0x3fb8aa3b, v1
	s_mov_b32 s0, 0x3fb8aa3b
	v_rndne_f32_e32 v19, v18
	v_sub_f32_e32 v20, v18, v19
	v_fma_f32 v18, v1, s0, -v18
	v_fmamk_f32 v18, v1, 0x32a5705f, v18
	v_add_f32_e32 v18, v20, v18
	v_exp_f32_e32 v18, v18
	v_cvt_i32_f32_e32 v19, v19
	s_mov_b32 s0, 0xc2ce8ed0
	v_cmp_ngt_f32_e64 s[0:1], s0, v1
	v_mov_b32_e32 v60, 0x7f800000
	v_ldexp_f32 v18, v18, v19
	v_cndmask_b32_e64 v18, 0, v18, s[0:1]
	s_mov_b32 s0, 0x42b17218
	v_cmp_nlt_f32_e64 s[0:1], s0, v1
	s_mov_b32 s3, 0x7f800000
	s_nop 0
	v_cndmask_b32_e64 v1, v60, v18, s[0:1]
	v_add_f32_e32 v20, 1.0, v1
	v_add_f32_e32 v18, -1.0, v20
	v_sub_f32_e32 v19, v18, v20
	v_add_f32_e32 v19, 1.0, v19
	v_sub_f32_e32 v18, v1, v18
	v_add_f32_e32 v21, v18, v19
	v_frexp_mant_f32_e32 v22, v20
	s_mov_b32 s0, 0x3f2aaaab
	v_cvt_f64_f32_e32 v[18:19], v20
	v_frexp_exp_i32_f64_e32 v18, v[18:19]
	v_cmp_gt_f32_e64 s[0:1], s0, v22
	s_nop 1
	v_subbrev_co_u32_e64 v26, s[0:1], 0, v18, s[0:1]
	v_sub_u32_e32 v18, 0, v26
	v_ldexp_f32 v19, v20, v18
	v_add_f32_e32 v20, -1.0, v19
	v_add_f32_e32 v22, 1.0, v19
	v_ldexp_f32 v18, v21, v18
	v_add_f32_e32 v21, 1.0, v20
	v_add_f32_e32 v23, -1.0, v22
	v_sub_f32_e32 v21, v19, v21
	v_sub_f32_e32 v19, v19, v23
	v_add_f32_e32 v21, v18, v21
	v_add_f32_e32 v18, v18, v19
	;; [unrolled: 1-line block ×3, first 2 shown]
	v_rcp_f32_e32 v29, v27
	v_sub_f32_e32 v19, v22, v27
	v_add_f32_e32 v28, v18, v19
	v_add_f32_e32 v19, v20, v21
	v_mul_f32_e32 v59, v19, v29
	v_sub_f32_e32 v18, v20, v19
	v_mul_f32_e32 v20, v27, v59
	v_fma_f32 v22, v59, v27, -v20
	v_fmac_f32_e32 v22, v59, v28
	v_add_f32_e32 v58, v21, v18
	v_add_f32_e32 v18, v20, v22
	v_sub_f32_e32 v21, v19, v18
	v_pk_add_f32 v[24:25], v[18:19], v[20:21] neg_lo:[0,1] neg_hi:[0,1]
	v_mov_b32_e32 v23, v18
	v_pk_add_f32 v[18:19], v[24:25], v[22:23] neg_lo:[0,1] neg_hi:[0,1]
	s_mov_b32 s0, 0x3f317218
	v_add_f32_e32 v19, v58, v19
	v_add_f32_e32 v18, v18, v19
	;; [unrolled: 1-line block ×3, first 2 shown]
	v_mul_f32_e32 v58, v29, v19
	v_mul_f32_e32 v20, v27, v58
	v_fma_f32 v22, v58, v27, -v20
	v_fmac_f32_e32 v22, v58, v28
	v_sub_f32_e32 v21, v21, v19
	v_add_f32_e32 v27, v18, v21
	v_add_f32_e32 v18, v20, v22
	v_sub_f32_e32 v21, v19, v18
	v_pk_add_f32 v[24:25], v[18:19], v[20:21] neg_lo:[0,1] neg_hi:[0,1]
	v_mov_b32_e32 v23, v18
	v_pk_add_f32 v[18:19], v[24:25], v[22:23] neg_lo:[0,1] neg_hi:[0,1]
	v_cvt_f32_i32_e32 v20, v26
	v_add_f32_e32 v19, v27, v19
	v_add_f32_e32 v18, v18, v19
	v_add_f32_e32 v18, v21, v18
	v_add_f32_e32 v21, v59, v58
	v_sub_f32_e32 v19, v21, v59
	v_mul_f32_e32 v18, v29, v18
	v_sub_f32_e32 v19, v58, v19
	v_add_f32_e32 v18, v19, v18
	v_add_f32_e32 v22, v21, v18
	v_mul_f32_e32 v24, v22, v22
	v_mov_b32_e32 v19, 0x3ecc95a3
	v_sub_f32_e32 v21, v22, v21
	v_fmac_f32_e32 v19, 0x3e9b6dac, v24
	v_sub_f32_e32 v18, v18, v21
	v_fmaak_f32 v19, v24, v19, 0x3f2aaada
	v_ldexp_f32 v25, v18, 1
	v_mul_f32_e32 v21, v22, v24
	v_mov_b32_e32 v18, 0x3f317218
	v_pk_mul_f32 v[18:19], v[20:21], v[18:19]
	v_ldexp_f32 v23, v22, 1
	v_fma_f32 v21, v20, s0, -v18
	v_fmamk_f32 v22, v20, 0xb102e308, v21
	v_pk_add_f32 v[20:21], v[18:19], v[22:23]
	v_mov_b32_e32 v24, v18
	v_sub_f32_e32 v23, v21, v23
	v_sub_f32_e32 v23, v19, v23
	v_add_f32_e32 v25, v25, v23
	v_pk_add_f32 v[18:19], v[20:21], v[18:19] neg_lo:[0,1] neg_hi:[0,1]
	v_pk_add_f32 v[26:27], v[20:21], v[24:25]
	v_mov_b32_e32 v23, v20
	v_mov_b32_e32 v19, v27
	v_pk_add_f32 v[28:29], v[22:23], v[18:19] neg_lo:[0,1] neg_hi:[0,1]
	v_pk_add_f32 v[18:19], v[22:23], v[18:19]
	v_mov_b32_e32 v24, v25
	v_pk_add_f32 v[22:23], v[18:19], v[20:21] op_sel:[1,0] op_sel_hi:[0,1] neg_lo:[0,1] neg_hi:[0,1]
	v_pk_add_f32 v[58:59], v[26:27], v[22:23] op_sel_hi:[1,0] neg_lo:[0,1] neg_hi:[0,1]
	v_mov_b32_e32 v26, v27
	v_mov_b32_e32 v27, v19
	v_pk_mov_b32 v[22:23], v[20:21], v[22:23] op_sel:[1,0]
	v_mov_b32_e32 v25, v20
	v_pk_add_f32 v[22:23], v[26:27], v[22:23] neg_lo:[0,1] neg_hi:[0,1]
	v_mov_b32_e32 v58, v28
	v_pk_add_f32 v[20:21], v[24:25], v[22:23] neg_lo:[0,1] neg_hi:[0,1]
	v_mov_b32_e32 v29, v19
	v_pk_add_f32 v[22:23], v[58:59], v[20:21]
	v_cmp_neq_f32_e64 s[0:1], s3, v1
	v_pk_add_f32 v[24:25], v[22:23], v[22:23] op_sel:[0,1] op_sel_hi:[1,0]
	s_nop 0
	v_pk_add_f32 v[18:19], v[18:19], v[24:25] op_sel:[1,0] op_sel_hi:[0,1]
	v_mov_b32_e32 v23, v18
	v_pk_add_f32 v[26:27], v[22:23], v[28:29] neg_lo:[0,1] neg_hi:[0,1]
	v_mov_b32_e32 v21, v24
	v_sub_f32_e32 v19, v22, v26
	v_pk_add_f32 v[20:21], v[20:21], v[26:27] neg_lo:[0,1] neg_hi:[0,1]
	v_sub_f32_e32 v19, v28, v19
	v_add_f32_e32 v19, v20, v19
	v_add_f32_e32 v19, v19, v21
	;; [unrolled: 1-line block ×3, first 2 shown]
	v_cndmask_b32_e64 v18, v60, v18, s[0:1]
	s_mov_b32 s0, 0x33800000
	v_cmp_gt_f32_e64 s[0:1], s0, v1
	s_nop 1
	v_cndmask_b32_e64 v1, v18, v1, s[0:1]
.LBB9_16:
	s_or_b64 exec, exec, s[22:23]
	v_lshl_add_u64 v[56:57], v[56:57], 0, s[12:13]
	global_load_dword v72, v[56:57], off
	v_mul_f32_e32 v70, v1, v14
	s_mov_b32 s22, 0x3fb8aa3b
	v_mul_f32_e32 v71, v1, v15
	v_mul_f32_e32 v79, 0x3fb8aa3b, v70
	;; [unrolled: 1-line block ×4, first 2 shown]
	v_fma_f32 v84, v70, s22, -v79
	v_rndne_f32_e32 v85, v79
	v_mul_f32_e32 v77, v1, v17
	v_mul_f32_e32 v81, 0x3fb8aa3b, v76
	v_fma_f32 v86, v71, s22, -v80
	v_rndne_f32_e32 v87, v80
	v_fmac_f32_e32 v84, 0x32a5705f, v70
	v_sub_f32_e32 v79, v79, v85
	v_mul_f32_e32 v82, 0x3fb8aa3b, v77
	v_fma_f32 v88, v76, s22, -v81
	v_rndne_f32_e32 v90, v81
	v_fmac_f32_e32 v86, 0x32a5705f, v71
	v_sub_f32_e32 v80, v80, v87
	v_add_f32_e32 v79, v79, v84
	v_fma_f32 v89, v77, s22, -v82
	v_rndne_f32_e32 v91, v82
	v_fmac_f32_e32 v88, 0x32a5705f, v76
	v_sub_f32_e32 v81, v81, v90
	v_cvt_i32_f32_e32 v85, v85
	v_add_f32_e32 v80, v80, v86
	v_exp_f32_e32 v79, v79
	v_fmac_f32_e32 v89, 0x32a5705f, v77
	v_cvt_i32_f32_e32 v87, v87
	v_sub_f32_e32 v82, v82, v91
	v_add_f32_e32 v81, v81, v88
	v_exp_f32_e32 v80, v80
	v_cvt_i32_f32_e32 v90, v90
	v_add_f32_e32 v82, v82, v89
	v_exp_f32_e32 v81, v81
	s_mov_b32 s3, 0xc2ce8ed0
	v_cvt_i32_f32_e32 v91, v91
	v_exp_f32_e32 v82, v82
	v_ldexp_f32 v79, v79, v85
	v_cmp_ngt_f32_e64 s[0:1], s3, v70
	v_ldexp_f32 v80, v80, v87
	v_ldexp_f32 v81, v81, v90
	v_cndmask_b32_e64 v79, 0, v79, s[0:1]
	v_cmp_ngt_f32_e64 s[0:1], s3, v71
	v_mov_b32_e32 v75, 0
	v_ldexp_f32 v82, v82, v91
	v_cndmask_b32_e64 v80, 0, v80, s[0:1]
	v_cmp_ngt_f32_e64 s[0:1], s3, v76
	v_mov_b32_e32 v73, 0x7f800000
	ds_read_b128 v[58:61], v75
	ds_read_b128 v[26:29], v75 offset:16
	ds_read_b128 v[22:25], v75 offset:32
	;; [unrolled: 1-line block ×3, first 2 shown]
	v_cndmask_b32_e64 v81, 0, v81, s[0:1]
	v_cmp_ngt_f32_e64 s[0:1], s3, v77
	v_mul_f32_e32 v78, v1, v10
	ds_read_b128 v[62:65], v75 offset:64
	ds_read_b128 v[66:69], v75 offset:80
	v_cndmask_b32_e64 v82, 0, v82, s[0:1]
	v_cmp_nlt_f32_e64 s[0:1], s20, v70
	v_mul_f32_e32 v83, 0x3fb8aa3b, v78
	v_fma_f32 v92, v78, s22, -v83
	v_cndmask_b32_e64 v70, v73, v79, s[0:1]
	v_cmp_nlt_f32_e64 s[0:1], s20, v71
	v_rndne_f32_e32 v93, v83
	v_fmac_f32_e32 v92, 0x32a5705f, v78
	v_cndmask_b32_e64 v71, v73, v80, s[0:1]
	v_cmp_nlt_f32_e64 s[0:1], s20, v76
	v_sub_f32_e32 v83, v83, v93
	v_add_f32_e32 v83, v83, v92
	v_cndmask_b32_e64 v76, v73, v81, s[0:1]
	v_cmp_nlt_f32_e64 s[0:1], s20, v77
	v_cvt_i32_f32_e32 v93, v93
	v_exp_f32_e32 v83, v83
	v_cndmask_b32_e64 v77, v73, v82, s[0:1]
	v_cmp_ngt_f32_e64 s[0:1], s3, v78
	v_ldexp_f32 v83, v83, v93
	s_waitcnt vmcnt(0)
	v_mul_f32_e32 v72, v1, v72
	s_waitcnt lgkmcnt(5)
	v_pk_mul_f32 v[58:59], v[72:73], v[58:59] op_sel_hi:[0,1]
	v_pk_fma_f32 v[58:59], v[32:33], v[70:71], v[58:59]
	v_mul_f32_e32 v33, v1, v11
	v_pk_mul_f32 v[60:61], v[72:73], v[60:61] op_sel_hi:[0,1]
	v_mul_f32_e32 v32, 0x3fb8aa3b, v33
	v_pk_fma_f32 v[60:61], v[40:41], v[76:77], v[60:61]
	s_waitcnt lgkmcnt(1)
	v_fma_f32 v40, v62, v58, 0
	v_fma_f32 v41, v33, s22, -v32
	v_rndne_f32_e32 v62, v32
	v_fmac_f32_e32 v41, 0x32a5705f, v33
	v_sub_f32_e32 v32, v32, v62
	v_add_f32_e32 v32, v32, v41
	v_exp_f32_e32 v41, v32
	v_cvt_i32_f32_e32 v62, v62
	v_cndmask_b32_e64 v32, 0, v83, s[0:1]
	v_cmp_nlt_f32_e64 s[0:1], s20, v78
	v_pk_mul_f32 v[26:27], v[72:73], v[26:27] op_sel_hi:[0,1]
	v_ldexp_f32 v41, v41, v62
	v_cndmask_b32_e64 v32, v73, v32, s[0:1]
	v_cmp_ngt_f32_e64 s[0:1], s3, v33
	v_fmac_f32_e32 v40, v63, v59
	v_fmac_f32_e32 v40, v64, v60
	v_cndmask_b32_e64 v41, 0, v41, s[0:1]
	v_cmp_nlt_f32_e64 s[0:1], s20, v33
	v_fmac_f32_e32 v40, v65, v61
	v_pk_mul_f32 v[28:29], v[72:73], v[28:29] op_sel_hi:[0,1]
	v_cndmask_b32_e64 v33, v73, v41, s[0:1]
	v_pk_fma_f32 v[62:63], v[42:43], v[32:33], v[26:27]
	v_mul_f32_e32 v32, v1, v12
	v_mul_f32_e32 v26, 0x3fb8aa3b, v32
	v_fma_f32 v27, v32, s22, -v26
	v_rndne_f32_e32 v33, v26
	v_fmac_f32_e32 v27, 0x32a5705f, v32
	v_sub_f32_e32 v26, v26, v33
	v_add_f32_e32 v26, v26, v27
	v_exp_f32_e32 v41, v26
	v_cvt_i32_f32_e32 v33, v33
	s_waitcnt lgkmcnt(0)
	v_pk_mul_f32 v[26:27], v[66:67], v[62:63]
	v_cmp_ngt_f32_e64 s[0:1], s3, v32
	v_add_f32_e32 v26, v40, v26
	v_add_f32_e32 v40, v26, v27
	v_mul_f32_e32 v27, v1, v13
	v_ldexp_f32 v26, v41, v33
	v_mul_f32_e32 v33, 0x3fb8aa3b, v27
	v_fma_f32 v41, v27, s22, -v33
	v_rndne_f32_e32 v42, v33
	v_fmac_f32_e32 v41, 0x32a5705f, v27
	v_sub_f32_e32 v33, v33, v42
	v_add_f32_e32 v33, v33, v41
	v_exp_f32_e32 v33, v33
	v_cvt_i32_f32_e32 v41, v42
	v_cndmask_b32_e64 v26, 0, v26, s[0:1]
	v_cmp_nlt_f32_e64 s[0:1], s20, v32
	v_pk_mul_f32 v[22:23], v[72:73], v[22:23] op_sel_hi:[0,1]
	v_ldexp_f32 v32, v33, v41
	v_cndmask_b32_e64 v26, v73, v26, s[0:1]
	v_cmp_ngt_f32_e64 s[0:1], s3, v27
	v_pk_mul_f32 v[24:25], v[72:73], v[24:25] op_sel_hi:[0,1]
	v_pk_mul_f32 v[18:19], v[72:73], v[18:19] op_sel_hi:[0,1]
	v_cndmask_b32_e64 v32, 0, v32, s[0:1]
	v_cmp_nlt_f32_e64 s[0:1], s20, v27
	v_pk_mul_f32 v[20:21], v[72:73], v[20:21] op_sel_hi:[0,1]
	s_nop 0
	v_cndmask_b32_e64 v27, v73, v32, s[0:1]
	v_pk_fma_f32 v[64:65], v[44:45], v[26:27], v[28:29]
	v_mul_f32_e32 v28, v1, v6
	v_mul_f32_e32 v26, 0x3fb8aa3b, v28
	v_fma_f32 v27, v28, s22, -v26
	v_rndne_f32_e32 v29, v26
	v_fmac_f32_e32 v27, 0x32a5705f, v28
	v_sub_f32_e32 v26, v26, v29
	v_add_f32_e32 v26, v26, v27
	v_exp_f32_e32 v32, v26
	v_cvt_i32_f32_e32 v29, v29
	v_pk_mul_f32 v[26:27], v[68:69], v[64:65]
	v_cmp_ngt_f32_e64 s[0:1], s3, v28
	v_add_f32_e32 v26, v40, v26
	v_add_f32_e32 v33, v26, v27
	v_mul_f32_e32 v27, v1, v7
	v_ldexp_f32 v26, v32, v29
	v_mul_f32_e32 v29, 0x3fb8aa3b, v27
	v_fma_f32 v32, v27, s22, -v29
	v_rndne_f32_e32 v40, v29
	v_fmac_f32_e32 v32, 0x32a5705f, v27
	v_sub_f32_e32 v29, v29, v40
	v_add_f32_e32 v29, v29, v32
	v_exp_f32_e32 v29, v29
	v_cvt_i32_f32_e32 v32, v40
	v_cndmask_b32_e64 v26, 0, v26, s[0:1]
	v_cmp_nlt_f32_e64 s[0:1], s20, v28
	v_ldexp_f32 v28, v29, v32
	s_nop 0
	v_cndmask_b32_e64 v26, v73, v26, s[0:1]
	v_cmp_ngt_f32_e64 s[0:1], s3, v27
	v_mul_f32_e32 v32, v1, v8
	s_nop 0
	v_cndmask_b32_e64 v28, 0, v28, s[0:1]
	v_cmp_nlt_f32_e64 s[0:1], s20, v27
	s_nop 1
	v_cndmask_b32_e64 v27, v73, v28, s[0:1]
	v_pk_fma_f32 v[66:67], v[46:47], v[26:27], v[22:23]
	ds_read_b128 v[26:29], v75 offset:96
	v_mul_f32_e32 v22, 0x3fb8aa3b, v32
	v_fma_f32 v23, v32, s22, -v22
	v_rndne_f32_e32 v40, v22
	v_fmac_f32_e32 v23, 0x32a5705f, v32
	v_sub_f32_e32 v22, v22, v40
	v_add_f32_e32 v22, v22, v23
	v_exp_f32_e32 v44, v22
	v_cvt_i32_f32_e32 v45, v40
	ds_read_b128 v[40:43], v75 offset:112
	s_waitcnt lgkmcnt(1)
	v_pk_mul_f32 v[22:23], v[26:27], v[66:67]
	v_cmp_ngt_f32_e64 s[0:1], s3, v32
	v_add_f32_e32 v22, v33, v22
	v_add_f32_e32 v26, v22, v23
	v_mul_f32_e32 v23, v1, v9
	v_mul_f32_e32 v27, 0x3fb8aa3b, v23
	v_ldexp_f32 v22, v44, v45
	v_fma_f32 v33, v23, s22, -v27
	v_rndne_f32_e32 v44, v27
	v_fmac_f32_e32 v33, 0x32a5705f, v23
	v_sub_f32_e32 v27, v27, v44
	v_add_f32_e32 v27, v27, v33
	v_exp_f32_e32 v27, v27
	v_cvt_i32_f32_e32 v33, v44
	v_cndmask_b32_e64 v22, 0, v22, s[0:1]
	v_cmp_nlt_f32_e64 s[0:1], s20, v32
	v_ldexp_f32 v27, v27, v33
	s_nop 0
	v_cndmask_b32_e64 v22, v73, v22, s[0:1]
	v_cmp_ngt_f32_e64 s[0:1], s3, v23
	s_nop 1
	v_cndmask_b32_e64 v27, 0, v27, s[0:1]
	v_cmp_nlt_f32_e64 s[0:1], s20, v23
	s_nop 1
	v_cndmask_b32_e64 v23, v73, v27, s[0:1]
	v_pk_fma_f32 v[68:69], v[48:49], v[22:23], v[24:25]
	v_mul_f32_e32 v24, v1, v2
	v_mul_f32_e32 v22, 0x3fb8aa3b, v24
	v_fma_f32 v23, v24, s22, -v22
	v_rndne_f32_e32 v25, v22
	v_fmac_f32_e32 v23, 0x32a5705f, v24
	v_sub_f32_e32 v22, v22, v25
	v_add_f32_e32 v22, v22, v23
	v_exp_f32_e32 v27, v22
	v_cvt_i32_f32_e32 v25, v25
	v_pk_mul_f32 v[22:23], v[28:29], v[68:69]
	v_cmp_ngt_f32_e64 s[0:1], s3, v24
	v_add_f32_e32 v22, v26, v22
	v_add_f32_e32 v26, v22, v23
	v_mul_f32_e32 v23, v1, v3
	v_ldexp_f32 v22, v27, v25
	v_mul_f32_e32 v25, 0x3fb8aa3b, v23
	v_fma_f32 v27, v23, s22, -v25
	v_rndne_f32_e32 v28, v25
	v_fmac_f32_e32 v27, 0x32a5705f, v23
	v_sub_f32_e32 v25, v25, v28
	v_add_f32_e32 v25, v25, v27
	v_exp_f32_e32 v25, v25
	v_cvt_i32_f32_e32 v27, v28
	v_cndmask_b32_e64 v22, 0, v22, s[0:1]
	v_cmp_nlt_f32_e64 s[0:1], s20, v24
	v_ldexp_f32 v24, v25, v27
	s_nop 0
	v_cndmask_b32_e64 v22, v73, v22, s[0:1]
	v_cmp_ngt_f32_e64 s[0:1], s3, v23
	s_nop 1
	v_cndmask_b32_e64 v24, 0, v24, s[0:1]
	v_cmp_nlt_f32_e64 s[0:1], s20, v23
	s_nop 1
	v_cndmask_b32_e64 v23, v73, v24, s[0:1]
	v_pk_fma_f32 v[70:71], v[50:51], v[22:23], v[18:19]
	v_mul_f32_e32 v22, v1, v4
	v_mul_f32_e32 v18, 0x3fb8aa3b, v22
	v_fma_f32 v19, v22, s22, -v18
	v_rndne_f32_e32 v23, v18
	v_fmac_f32_e32 v19, 0x32a5705f, v22
	v_sub_f32_e32 v18, v18, v23
	v_add_f32_e32 v18, v18, v19
	v_exp_f32_e32 v24, v18
	v_cvt_i32_f32_e32 v23, v23
	s_waitcnt lgkmcnt(0)
	v_pk_mul_f32 v[18:19], v[40:41], v[70:71]
	v_mul_f32_e32 v1, v1, v5
	v_add_f32_e32 v18, v26, v18
	v_add_f32_e32 v25, v18, v19
	v_mul_f32_e32 v19, 0x3fb8aa3b, v1
	v_ldexp_f32 v18, v24, v23
	v_fma_f32 v23, v1, s22, -v19
	v_rndne_f32_e32 v24, v19
	v_fmac_f32_e32 v23, 0x32a5705f, v1
	v_sub_f32_e32 v19, v19, v24
	v_add_f32_e32 v19, v19, v23
	v_exp_f32_e32 v19, v19
	v_cvt_i32_f32_e32 v23, v24
	v_cmp_ngt_f32_e64 s[0:1], s3, v22
	v_ldexp_f32 v19, v19, v23
	s_nop 0
	v_cndmask_b32_e64 v18, 0, v18, s[0:1]
	v_cmp_nlt_f32_e64 s[0:1], s20, v22
	s_nop 1
	v_cndmask_b32_e64 v18, v73, v18, s[0:1]
	v_cmp_ngt_f32_e64 s[0:1], s3, v1
	s_nop 1
	v_cndmask_b32_e64 v19, 0, v19, s[0:1]
	v_cmp_nlt_f32_e64 s[0:1], s20, v1
	s_nop 1
	v_cndmask_b32_e64 v19, v73, v19, s[0:1]
	v_pk_fma_f32 v[72:73], v[52:53], v[18:19], v[20:21]
	s_nop 0
	v_pk_mul_f32 v[18:19], v[42:43], v[72:73]
	s_nop 0
	v_add_f32_e32 v1, v25, v18
	v_add_f32_e32 v1, v1, v19
	v_mad_i64_i32 v[18:19], s[0:1], s10, 12, v[30:31]
	global_store_dword v[18:19], v1, off
	s_barrier
	s_and_saveexec_b64 s[0:1], vcc
	s_cbranch_execz .LBB9_18
; %bb.17:
	v_lshl_add_u64 v[18:19], s[4:5], 4, v[38:39]
	global_load_dword v1, v[18:19], off
	v_lshl_add_u64 v[18:19], s[6:7], 4, v[36:37]
	global_load_dword v18, v[18:19], off
	s_waitcnt vmcnt(1)
	ds_write_b32 v0, v1
	s_waitcnt vmcnt(0)
	ds_write_b32 v74, v18
.LBB9_18:
	s_or_b64 exec, exec, s[0:1]
	v_lshl_add_u64 v[32:33], v[54:55], 0, s[14:15]
	s_waitcnt lgkmcnt(0)
	s_barrier
	global_load_dword v1, v[32:33], off
	s_mov_b32 s0, 0x41a00000
	s_waitcnt vmcnt(0)
	v_cmp_ge_f32_e64 s[0:1], s0, v1
	s_and_saveexec_b64 s[22:23], s[0:1]
	s_cbranch_execz .LBB9_20
; %bb.19:
	v_mul_f32_e32 v18, 0x3fb8aa3b, v1
	s_mov_b32 s0, 0x3fb8aa3b
	v_rndne_f32_e32 v19, v18
	v_sub_f32_e32 v20, v18, v19
	v_fma_f32 v18, v1, s0, -v18
	v_fmamk_f32 v18, v1, 0x32a5705f, v18
	v_add_f32_e32 v18, v20, v18
	v_exp_f32_e32 v18, v18
	v_cvt_i32_f32_e32 v19, v19
	s_mov_b32 s0, 0xc2ce8ed0
	v_cmp_ngt_f32_e64 s[0:1], s0, v1
	v_mov_b32_e32 v42, 0x7f800000
	v_ldexp_f32 v18, v18, v19
	v_cndmask_b32_e64 v18, 0, v18, s[0:1]
	s_mov_b32 s0, 0x42b17218
	v_cmp_nlt_f32_e64 s[0:1], s0, v1
	s_mov_b32 s3, 0x7f800000
	s_nop 0
	v_cndmask_b32_e64 v1, v42, v18, s[0:1]
	v_add_f32_e32 v20, 1.0, v1
	v_add_f32_e32 v18, -1.0, v20
	v_sub_f32_e32 v19, v18, v20
	v_add_f32_e32 v19, 1.0, v19
	v_sub_f32_e32 v18, v1, v18
	v_add_f32_e32 v21, v18, v19
	v_frexp_mant_f32_e32 v22, v20
	s_mov_b32 s0, 0x3f2aaaab
	v_cvt_f64_f32_e32 v[18:19], v20
	v_frexp_exp_i32_f64_e32 v18, v[18:19]
	v_cmp_gt_f32_e64 s[0:1], s0, v22
	s_nop 1
	v_subbrev_co_u32_e64 v26, s[0:1], 0, v18, s[0:1]
	v_sub_u32_e32 v18, 0, v26
	v_ldexp_f32 v19, v20, v18
	v_add_f32_e32 v20, -1.0, v19
	v_add_f32_e32 v22, 1.0, v19
	v_ldexp_f32 v18, v21, v18
	v_add_f32_e32 v21, 1.0, v20
	v_add_f32_e32 v23, -1.0, v22
	v_sub_f32_e32 v21, v19, v21
	v_sub_f32_e32 v19, v19, v23
	v_add_f32_e32 v21, v18, v21
	v_add_f32_e32 v18, v18, v19
	;; [unrolled: 1-line block ×3, first 2 shown]
	v_rcp_f32_e32 v29, v27
	v_sub_f32_e32 v19, v22, v27
	v_add_f32_e32 v28, v18, v19
	v_add_f32_e32 v19, v20, v21
	v_mul_f32_e32 v41, v19, v29
	v_sub_f32_e32 v18, v20, v19
	v_mul_f32_e32 v20, v27, v41
	v_fma_f32 v22, v41, v27, -v20
	v_fmac_f32_e32 v22, v41, v28
	v_add_f32_e32 v40, v21, v18
	v_add_f32_e32 v18, v20, v22
	v_sub_f32_e32 v21, v19, v18
	v_pk_add_f32 v[24:25], v[18:19], v[20:21] neg_lo:[0,1] neg_hi:[0,1]
	v_mov_b32_e32 v23, v18
	v_pk_add_f32 v[18:19], v[24:25], v[22:23] neg_lo:[0,1] neg_hi:[0,1]
	s_mov_b32 s0, 0x3f317218
	v_add_f32_e32 v19, v40, v19
	v_add_f32_e32 v18, v18, v19
	;; [unrolled: 1-line block ×3, first 2 shown]
	v_mul_f32_e32 v40, v29, v19
	v_mul_f32_e32 v20, v27, v40
	v_fma_f32 v22, v40, v27, -v20
	v_fmac_f32_e32 v22, v40, v28
	v_sub_f32_e32 v21, v21, v19
	v_add_f32_e32 v27, v18, v21
	v_add_f32_e32 v18, v20, v22
	v_sub_f32_e32 v21, v19, v18
	v_pk_add_f32 v[24:25], v[18:19], v[20:21] neg_lo:[0,1] neg_hi:[0,1]
	v_mov_b32_e32 v23, v18
	v_pk_add_f32 v[18:19], v[24:25], v[22:23] neg_lo:[0,1] neg_hi:[0,1]
	v_cvt_f32_i32_e32 v20, v26
	v_add_f32_e32 v19, v27, v19
	v_add_f32_e32 v18, v18, v19
	;; [unrolled: 1-line block ×4, first 2 shown]
	v_sub_f32_e32 v19, v21, v41
	v_mul_f32_e32 v18, v29, v18
	v_sub_f32_e32 v19, v40, v19
	v_add_f32_e32 v18, v19, v18
	v_add_f32_e32 v22, v21, v18
	v_mul_f32_e32 v24, v22, v22
	v_mov_b32_e32 v19, 0x3ecc95a3
	v_sub_f32_e32 v21, v22, v21
	v_fmac_f32_e32 v19, 0x3e9b6dac, v24
	v_sub_f32_e32 v18, v18, v21
	v_fmaak_f32 v19, v24, v19, 0x3f2aaada
	v_ldexp_f32 v25, v18, 1
	v_mul_f32_e32 v21, v22, v24
	v_mov_b32_e32 v18, 0x3f317218
	v_pk_mul_f32 v[18:19], v[20:21], v[18:19]
	v_ldexp_f32 v23, v22, 1
	v_fma_f32 v21, v20, s0, -v18
	v_fmamk_f32 v22, v20, 0xb102e308, v21
	v_pk_add_f32 v[20:21], v[18:19], v[22:23]
	v_mov_b32_e32 v24, v18
	v_sub_f32_e32 v23, v21, v23
	v_sub_f32_e32 v23, v19, v23
	v_add_f32_e32 v25, v25, v23
	v_pk_add_f32 v[18:19], v[20:21], v[18:19] neg_lo:[0,1] neg_hi:[0,1]
	v_pk_add_f32 v[26:27], v[20:21], v[24:25]
	v_mov_b32_e32 v23, v20
	v_mov_b32_e32 v19, v27
	v_pk_add_f32 v[28:29], v[22:23], v[18:19] neg_lo:[0,1] neg_hi:[0,1]
	v_pk_add_f32 v[18:19], v[22:23], v[18:19]
	v_mov_b32_e32 v24, v25
	v_pk_add_f32 v[22:23], v[18:19], v[20:21] op_sel:[1,0] op_sel_hi:[0,1] neg_lo:[0,1] neg_hi:[0,1]
	v_pk_add_f32 v[40:41], v[26:27], v[22:23] op_sel_hi:[1,0] neg_lo:[0,1] neg_hi:[0,1]
	v_mov_b32_e32 v26, v27
	v_mov_b32_e32 v27, v19
	v_pk_mov_b32 v[22:23], v[20:21], v[22:23] op_sel:[1,0]
	v_mov_b32_e32 v25, v20
	v_pk_add_f32 v[22:23], v[26:27], v[22:23] neg_lo:[0,1] neg_hi:[0,1]
	v_mov_b32_e32 v40, v28
	v_pk_add_f32 v[20:21], v[24:25], v[22:23] neg_lo:[0,1] neg_hi:[0,1]
	v_mov_b32_e32 v29, v19
	v_pk_add_f32 v[22:23], v[40:41], v[20:21]
	v_cmp_neq_f32_e64 s[0:1], s3, v1
	v_pk_add_f32 v[24:25], v[22:23], v[22:23] op_sel:[0,1] op_sel_hi:[1,0]
	s_nop 0
	v_pk_add_f32 v[18:19], v[18:19], v[24:25] op_sel:[1,0] op_sel_hi:[0,1]
	v_mov_b32_e32 v23, v18
	v_pk_add_f32 v[26:27], v[22:23], v[28:29] neg_lo:[0,1] neg_hi:[0,1]
	v_mov_b32_e32 v21, v24
	v_sub_f32_e32 v19, v22, v26
	v_pk_add_f32 v[20:21], v[20:21], v[26:27] neg_lo:[0,1] neg_hi:[0,1]
	v_sub_f32_e32 v19, v28, v19
	v_add_f32_e32 v19, v20, v19
	v_add_f32_e32 v19, v19, v21
	;; [unrolled: 1-line block ×3, first 2 shown]
	v_cndmask_b32_e64 v18, v42, v18, s[0:1]
	s_mov_b32 s0, 0x33800000
	v_cmp_gt_f32_e64 s[0:1], s0, v1
	s_nop 1
	v_cndmask_b32_e64 v1, v18, v1, s[0:1]
.LBB9_20:
	s_or_b64 exec, exec, s[22:23]
	v_lshl_add_u64 v[40:41], v[56:57], 0, s[12:13]
	global_load_dword v56, v[40:41], off
	v_mul_f32_e32 v54, v1, v14
	s_mov_b32 s7, 0x3fb8aa3b
	v_mul_f32_e32 v55, v1, v15
	v_mul_f32_e32 v79, 0x3fb8aa3b, v54
	;; [unrolled: 1-line block ×4, first 2 shown]
	v_fma_f32 v84, v54, s7, -v79
	v_rndne_f32_e32 v85, v79
	v_mul_f32_e32 v77, v1, v17
	v_mul_f32_e32 v81, 0x3fb8aa3b, v76
	v_fma_f32 v86, v55, s7, -v80
	v_rndne_f32_e32 v87, v80
	v_fmac_f32_e32 v84, 0x32a5705f, v54
	v_sub_f32_e32 v79, v79, v85
	v_mul_f32_e32 v82, 0x3fb8aa3b, v77
	v_fma_f32 v88, v76, s7, -v81
	v_rndne_f32_e32 v90, v81
	v_fmac_f32_e32 v86, 0x32a5705f, v55
	v_sub_f32_e32 v80, v80, v87
	v_add_f32_e32 v79, v79, v84
	v_fma_f32 v89, v77, s7, -v82
	v_rndne_f32_e32 v91, v82
	v_fmac_f32_e32 v88, 0x32a5705f, v76
	v_sub_f32_e32 v81, v81, v90
	v_cvt_i32_f32_e32 v85, v85
	v_add_f32_e32 v80, v80, v86
	v_exp_f32_e32 v79, v79
	v_fmac_f32_e32 v89, 0x32a5705f, v77
	v_cvt_i32_f32_e32 v87, v87
	v_sub_f32_e32 v82, v82, v91
	v_add_f32_e32 v81, v81, v88
	v_exp_f32_e32 v80, v80
	v_cvt_i32_f32_e32 v90, v90
	v_add_f32_e32 v82, v82, v89
	v_exp_f32_e32 v81, v81
	s_mov_b32 s3, 0xc2ce8ed0
	v_cvt_i32_f32_e32 v91, v91
	v_exp_f32_e32 v82, v82
	v_ldexp_f32 v79, v79, v85
	v_cmp_ngt_f32_e64 s[0:1], s3, v54
	v_ldexp_f32 v80, v80, v87
	v_ldexp_f32 v81, v81, v90
	v_cndmask_b32_e64 v79, 0, v79, s[0:1]
	v_cmp_ngt_f32_e64 s[0:1], s3, v55
	s_mov_b32 s5, 0x42b17218
	v_mov_b32_e32 v75, 0
	v_cndmask_b32_e64 v80, 0, v80, s[0:1]
	v_cmp_ngt_f32_e64 s[0:1], s3, v76
	v_ldexp_f32 v82, v82, v91
	v_mov_b32_e32 v57, 0x7f800000
	v_cndmask_b32_e64 v81, 0, v81, s[0:1]
	v_cmp_ngt_f32_e64 s[0:1], s3, v77
	ds_read_b128 v[42:45], v75
	ds_read_b128 v[26:29], v75 offset:16
	ds_read_b128 v[22:25], v75 offset:32
	;; [unrolled: 1-line block ×5, first 2 shown]
	v_cndmask_b32_e64 v82, 0, v82, s[0:1]
	v_cmp_nlt_f32_e64 s[0:1], s5, v54
	v_mul_f32_e32 v78, v1, v10
	v_mul_f32_e32 v83, 0x3fb8aa3b, v78
	v_cndmask_b32_e64 v54, v57, v79, s[0:1]
	v_cmp_nlt_f32_e64 s[0:1], s5, v55
	v_fma_f32 v92, v78, s7, -v83
	v_rndne_f32_e32 v93, v83
	v_cndmask_b32_e64 v55, v57, v80, s[0:1]
	v_cmp_nlt_f32_e64 s[0:1], s5, v76
	v_fmac_f32_e32 v92, 0x32a5705f, v78
	v_sub_f32_e32 v83, v83, v93
	v_cndmask_b32_e64 v76, v57, v81, s[0:1]
	v_cmp_nlt_f32_e64 s[0:1], s5, v77
	v_add_f32_e32 v83, v83, v92
	v_cvt_i32_f32_e32 v93, v93
	v_cndmask_b32_e64 v77, v57, v82, s[0:1]
	v_exp_f32_e32 v83, v83
	v_cmp_ngt_f32_e64 s[0:1], s3, v78
	v_ldexp_f32 v83, v83, v93
	s_waitcnt vmcnt(0)
	v_mul_f32_e32 v56, v1, v56
	s_waitcnt lgkmcnt(5)
	v_pk_mul_f32 v[42:43], v[56:57], v[42:43] op_sel_hi:[0,1]
	v_pk_fma_f32 v[42:43], v[58:59], v[54:55], v[42:43]
	v_pk_mul_f32 v[44:45], v[56:57], v[44:45] op_sel_hi:[0,1]
	s_waitcnt lgkmcnt(1)
	v_fma_f32 v54, v46, v42, 0
	v_pk_fma_f32 v[44:45], v[60:61], v[76:77], v[44:45]
	v_fmac_f32_e32 v54, v47, v43
	v_mul_f32_e32 v47, v1, v11
	v_fmac_f32_e32 v54, v48, v44
	v_mul_f32_e32 v46, 0x3fb8aa3b, v47
	v_fmac_f32_e32 v54, v49, v45
	v_fma_f32 v48, v47, s7, -v46
	v_rndne_f32_e32 v49, v46
	v_fmac_f32_e32 v48, 0x32a5705f, v47
	v_sub_f32_e32 v46, v46, v49
	v_add_f32_e32 v46, v46, v48
	v_exp_f32_e32 v48, v46
	v_cvt_i32_f32_e32 v49, v49
	v_cndmask_b32_e64 v46, 0, v83, s[0:1]
	v_cmp_nlt_f32_e64 s[0:1], s5, v78
	v_pk_mul_f32 v[26:27], v[56:57], v[26:27] op_sel_hi:[0,1]
	v_ldexp_f32 v48, v48, v49
	v_cndmask_b32_e64 v46, v57, v46, s[0:1]
	v_cmp_ngt_f32_e64 s[0:1], s3, v47
	v_pk_mul_f32 v[28:29], v[56:57], v[28:29] op_sel_hi:[0,1]
	v_pk_mul_f32 v[22:23], v[56:57], v[22:23] op_sel_hi:[0,1]
	v_cndmask_b32_e64 v48, 0, v48, s[0:1]
	v_cmp_nlt_f32_e64 s[0:1], s5, v47
	v_pk_mul_f32 v[24:25], v[56:57], v[24:25] op_sel_hi:[0,1]
	v_pk_mul_f32 v[18:19], v[56:57], v[18:19] op_sel_hi:[0,1]
	v_cndmask_b32_e64 v47, v57, v48, s[0:1]
	v_mul_f32_e32 v48, v1, v12
	v_pk_fma_f32 v[46:47], v[62:63], v[46:47], v[26:27]
	v_mul_f32_e32 v26, 0x3fb8aa3b, v48
	v_fma_f32 v27, v48, s7, -v26
	v_rndne_f32_e32 v49, v26
	v_fmac_f32_e32 v27, 0x32a5705f, v48
	v_sub_f32_e32 v26, v26, v49
	v_add_f32_e32 v26, v26, v27
	v_exp_f32_e32 v55, v26
	v_cvt_i32_f32_e32 v49, v49
	s_waitcnt lgkmcnt(0)
	v_pk_mul_f32 v[26:27], v[50:51], v[46:47]
	v_cmp_ngt_f32_e64 s[0:1], s3, v48
	v_add_f32_e32 v26, v54, v26
	v_add_f32_e32 v50, v26, v27
	v_mul_f32_e32 v27, v1, v13
	v_ldexp_f32 v26, v55, v49
	v_mul_f32_e32 v49, 0x3fb8aa3b, v27
	v_fma_f32 v51, v27, s7, -v49
	v_rndne_f32_e32 v54, v49
	v_fmac_f32_e32 v51, 0x32a5705f, v27
	v_sub_f32_e32 v49, v49, v54
	v_add_f32_e32 v49, v49, v51
	v_exp_f32_e32 v49, v49
	v_cvt_i32_f32_e32 v51, v54
	v_cndmask_b32_e64 v26, 0, v26, s[0:1]
	v_cmp_nlt_f32_e64 s[0:1], s5, v48
	ds_read_b128 v[58:61], v75 offset:112
	v_ldexp_f32 v48, v49, v51
	v_cndmask_b32_e64 v26, v57, v26, s[0:1]
	v_cmp_ngt_f32_e64 s[0:1], s3, v27
	v_pk_mul_f32 v[20:21], v[56:57], v[20:21] op_sel_hi:[0,1]
	s_nop 0
	v_cndmask_b32_e64 v48, 0, v48, s[0:1]
	v_cmp_nlt_f32_e64 s[0:1], s5, v27
	s_nop 1
	v_cndmask_b32_e64 v27, v57, v48, s[0:1]
	v_pk_fma_f32 v[48:49], v[64:65], v[26:27], v[28:29]
	v_mul_f32_e32 v28, v1, v6
	v_mul_f32_e32 v26, 0x3fb8aa3b, v28
	v_fma_f32 v27, v28, s7, -v26
	v_rndne_f32_e32 v29, v26
	v_fmac_f32_e32 v27, 0x32a5705f, v28
	v_sub_f32_e32 v26, v26, v29
	v_add_f32_e32 v26, v26, v27
	v_exp_f32_e32 v51, v26
	v_cvt_i32_f32_e32 v29, v29
	v_pk_mul_f32 v[26:27], v[52:53], v[48:49]
	v_cmp_ngt_f32_e64 s[0:1], s3, v28
	v_add_f32_e32 v26, v50, v26
	v_add_f32_e32 v52, v26, v27
	v_mul_f32_e32 v27, v1, v7
	v_ldexp_f32 v26, v51, v29
	v_mul_f32_e32 v29, 0x3fb8aa3b, v27
	v_fma_f32 v50, v27, s7, -v29
	v_rndne_f32_e32 v51, v29
	v_fmac_f32_e32 v50, 0x32a5705f, v27
	v_sub_f32_e32 v29, v29, v51
	v_add_f32_e32 v29, v29, v50
	v_exp_f32_e32 v29, v29
	v_cvt_i32_f32_e32 v50, v51
	v_cndmask_b32_e64 v26, 0, v26, s[0:1]
	v_cmp_nlt_f32_e64 s[0:1], s5, v28
	v_mul_f32_e32 v53, v1, v8
	v_ldexp_f32 v28, v29, v50
	v_cndmask_b32_e64 v26, v57, v26, s[0:1]
	v_cmp_ngt_f32_e64 s[0:1], s3, v27
	s_nop 1
	v_cndmask_b32_e64 v28, 0, v28, s[0:1]
	v_cmp_nlt_f32_e64 s[0:1], s5, v27
	s_nop 1
	v_cndmask_b32_e64 v27, v57, v28, s[0:1]
	v_pk_fma_f32 v[50:51], v[66:67], v[26:27], v[22:23]
	ds_read_b128 v[26:29], v75 offset:96
	v_mul_f32_e32 v22, 0x3fb8aa3b, v53
	v_fma_f32 v23, v53, s7, -v22
	v_rndne_f32_e32 v54, v22
	v_fmac_f32_e32 v23, 0x32a5705f, v53
	v_sub_f32_e32 v22, v22, v54
	v_add_f32_e32 v22, v22, v23
	v_exp_f32_e32 v55, v22
	v_cvt_i32_f32_e32 v54, v54
	s_waitcnt lgkmcnt(0)
	v_pk_mul_f32 v[22:23], v[26:27], v[50:51]
	v_cmp_ngt_f32_e64 s[0:1], s3, v53
	v_add_f32_e32 v22, v52, v22
	v_add_f32_e32 v26, v22, v23
	v_mul_f32_e32 v23, v1, v9
	v_mul_f32_e32 v27, 0x3fb8aa3b, v23
	v_ldexp_f32 v22, v55, v54
	v_fma_f32 v52, v23, s7, -v27
	v_rndne_f32_e32 v54, v27
	v_fmac_f32_e32 v52, 0x32a5705f, v23
	v_sub_f32_e32 v27, v27, v54
	v_add_f32_e32 v27, v27, v52
	v_exp_f32_e32 v27, v27
	v_cvt_i32_f32_e32 v52, v54
	v_cndmask_b32_e64 v22, 0, v22, s[0:1]
	v_cmp_nlt_f32_e64 s[0:1], s5, v53
	v_ldexp_f32 v27, v27, v52
	s_nop 0
	v_cndmask_b32_e64 v22, v57, v22, s[0:1]
	v_cmp_ngt_f32_e64 s[0:1], s3, v23
	s_nop 1
	v_cndmask_b32_e64 v27, 0, v27, s[0:1]
	v_cmp_nlt_f32_e64 s[0:1], s5, v23
	s_nop 1
	v_cndmask_b32_e64 v23, v57, v27, s[0:1]
	v_pk_fma_f32 v[52:53], v[68:69], v[22:23], v[24:25]
	v_mul_f32_e32 v24, v1, v2
	v_mul_f32_e32 v22, 0x3fb8aa3b, v24
	v_fma_f32 v23, v24, s7, -v22
	v_rndne_f32_e32 v25, v22
	v_fmac_f32_e32 v23, 0x32a5705f, v24
	v_sub_f32_e32 v22, v22, v25
	v_add_f32_e32 v22, v22, v23
	v_exp_f32_e32 v27, v22
	v_cvt_i32_f32_e32 v25, v25
	v_pk_mul_f32 v[22:23], v[28:29], v[52:53]
	v_cmp_ngt_f32_e64 s[0:1], s3, v24
	v_add_f32_e32 v22, v26, v22
	v_add_f32_e32 v26, v22, v23
	v_mul_f32_e32 v23, v1, v3
	v_ldexp_f32 v22, v27, v25
	v_mul_f32_e32 v25, 0x3fb8aa3b, v23
	v_fma_f32 v27, v23, s7, -v25
	v_rndne_f32_e32 v28, v25
	v_fmac_f32_e32 v27, 0x32a5705f, v23
	v_sub_f32_e32 v25, v25, v28
	v_add_f32_e32 v25, v25, v27
	v_exp_f32_e32 v25, v25
	v_cvt_i32_f32_e32 v27, v28
	v_cndmask_b32_e64 v22, 0, v22, s[0:1]
	v_cmp_nlt_f32_e64 s[0:1], s5, v24
	v_ldexp_f32 v24, v25, v27
	s_nop 0
	v_cndmask_b32_e64 v22, v57, v22, s[0:1]
	v_cmp_ngt_f32_e64 s[0:1], s3, v23
	s_nop 1
	v_cndmask_b32_e64 v24, 0, v24, s[0:1]
	v_cmp_nlt_f32_e64 s[0:1], s5, v23
	s_nop 1
	v_cndmask_b32_e64 v23, v57, v24, s[0:1]
	v_pk_fma_f32 v[54:55], v[70:71], v[22:23], v[18:19]
	v_mul_f32_e32 v22, v1, v4
	v_mul_f32_e32 v18, 0x3fb8aa3b, v22
	v_fma_f32 v19, v22, s7, -v18
	v_rndne_f32_e32 v23, v18
	v_fmac_f32_e32 v19, 0x32a5705f, v22
	v_sub_f32_e32 v18, v18, v23
	v_add_f32_e32 v18, v18, v19
	v_exp_f32_e32 v24, v18
	v_cvt_i32_f32_e32 v23, v23
	v_pk_mul_f32 v[18:19], v[58:59], v[54:55]
	v_mul_f32_e32 v1, v1, v5
	v_add_f32_e32 v18, v26, v18
	v_add_f32_e32 v25, v18, v19
	v_mul_f32_e32 v19, 0x3fb8aa3b, v1
	v_ldexp_f32 v18, v24, v23
	v_fma_f32 v23, v1, s7, -v19
	v_rndne_f32_e32 v24, v19
	v_fmac_f32_e32 v23, 0x32a5705f, v1
	v_sub_f32_e32 v19, v19, v24
	v_add_f32_e32 v19, v19, v23
	v_exp_f32_e32 v19, v19
	v_cvt_i32_f32_e32 v23, v24
	v_cmp_ngt_f32_e64 s[0:1], s3, v22
	v_ldexp_f32 v19, v19, v23
	s_nop 0
	v_cndmask_b32_e64 v18, 0, v18, s[0:1]
	v_cmp_nlt_f32_e64 s[0:1], s5, v22
	s_nop 1
	v_cndmask_b32_e64 v18, v57, v18, s[0:1]
	v_cmp_ngt_f32_e64 s[0:1], s3, v1
	s_nop 1
	v_cndmask_b32_e64 v19, 0, v19, s[0:1]
	v_cmp_nlt_f32_e64 s[0:1], s5, v1
	s_nop 1
	v_cndmask_b32_e64 v19, v57, v19, s[0:1]
	v_pk_fma_f32 v[56:57], v[72:73], v[18:19], v[20:21]
	s_ashr_i64 s[0:1], s[16:17], 28
	v_pk_mul_f32 v[18:19], v[60:61], v[56:57]
	s_nop 0
	v_add_f32_e32 v1, v25, v18
	v_add_f32_e32 v1, v1, v19
	v_lshl_add_u64 v[18:19], v[30:31], 0, s[0:1]
	global_store_dword v[18:19], v1, off
	s_barrier
	s_and_saveexec_b64 s[0:1], vcc
	s_cbranch_execz .LBB9_22
; %bb.21:
	v_mad_i64_i32 v[18:19], s[16:17], s4, 20, v[38:39]
	global_load_dword v1, v[18:19], off
	v_mad_i64_i32 v[18:19], s[16:17], s6, 20, v[36:37]
	global_load_dword v18, v[18:19], off
	s_waitcnt vmcnt(1)
	ds_write_b32 v0, v1
	s_waitcnt vmcnt(0)
	ds_write_b32 v74, v18
.LBB9_22:
	s_or_b64 exec, exec, s[0:1]
	v_lshl_add_u64 v[32:33], v[32:33], 0, s[14:15]
	s_waitcnt lgkmcnt(0)
	s_barrier
	global_load_dword v1, v[32:33], off
	s_mov_b32 s0, 0x41a00000
	s_waitcnt vmcnt(0)
	v_cmp_ge_f32_e64 s[0:1], s0, v1
	s_and_saveexec_b64 s[16:17], s[0:1]
	s_cbranch_execz .LBB9_24
; %bb.23:
	v_mul_f32_e32 v18, 0x3fb8aa3b, v1
	s_mov_b32 s0, 0x3fb8aa3b
	v_rndne_f32_e32 v19, v18
	v_sub_f32_e32 v20, v18, v19
	v_fma_f32 v18, v1, s0, -v18
	v_fmamk_f32 v18, v1, 0x32a5705f, v18
	v_add_f32_e32 v18, v20, v18
	v_exp_f32_e32 v18, v18
	v_cvt_i32_f32_e32 v19, v19
	s_mov_b32 s0, 0xc2ce8ed0
	v_cmp_ngt_f32_e64 s[0:1], s0, v1
	v_mov_b32_e32 v60, 0x7f800000
	v_ldexp_f32 v18, v18, v19
	v_cndmask_b32_e64 v18, 0, v18, s[0:1]
	s_mov_b32 s0, 0x42b17218
	v_cmp_nlt_f32_e64 s[0:1], s0, v1
	s_mov_b32 s3, 0x7f800000
	s_nop 0
	v_cndmask_b32_e64 v1, v60, v18, s[0:1]
	v_add_f32_e32 v20, 1.0, v1
	v_add_f32_e32 v18, -1.0, v20
	v_sub_f32_e32 v19, v18, v20
	v_add_f32_e32 v19, 1.0, v19
	v_sub_f32_e32 v18, v1, v18
	v_add_f32_e32 v21, v18, v19
	v_frexp_mant_f32_e32 v22, v20
	s_mov_b32 s0, 0x3f2aaaab
	v_cvt_f64_f32_e32 v[18:19], v20
	v_frexp_exp_i32_f64_e32 v18, v[18:19]
	v_cmp_gt_f32_e64 s[0:1], s0, v22
	s_nop 1
	v_subbrev_co_u32_e64 v26, s[0:1], 0, v18, s[0:1]
	v_sub_u32_e32 v18, 0, v26
	v_ldexp_f32 v19, v20, v18
	v_add_f32_e32 v20, -1.0, v19
	v_add_f32_e32 v22, 1.0, v19
	v_ldexp_f32 v18, v21, v18
	v_add_f32_e32 v21, 1.0, v20
	v_add_f32_e32 v23, -1.0, v22
	v_sub_f32_e32 v21, v19, v21
	v_sub_f32_e32 v19, v19, v23
	v_add_f32_e32 v21, v18, v21
	v_add_f32_e32 v18, v18, v19
	;; [unrolled: 1-line block ×3, first 2 shown]
	v_rcp_f32_e32 v29, v27
	v_sub_f32_e32 v19, v22, v27
	v_add_f32_e32 v28, v18, v19
	v_add_f32_e32 v19, v20, v21
	v_mul_f32_e32 v59, v19, v29
	v_sub_f32_e32 v18, v20, v19
	v_mul_f32_e32 v20, v27, v59
	v_fma_f32 v22, v59, v27, -v20
	v_fmac_f32_e32 v22, v59, v28
	v_add_f32_e32 v58, v21, v18
	v_add_f32_e32 v18, v20, v22
	v_sub_f32_e32 v21, v19, v18
	v_pk_add_f32 v[24:25], v[18:19], v[20:21] neg_lo:[0,1] neg_hi:[0,1]
	v_mov_b32_e32 v23, v18
	v_pk_add_f32 v[18:19], v[24:25], v[22:23] neg_lo:[0,1] neg_hi:[0,1]
	s_mov_b32 s0, 0x3f317218
	v_add_f32_e32 v19, v58, v19
	v_add_f32_e32 v18, v18, v19
	;; [unrolled: 1-line block ×3, first 2 shown]
	v_mul_f32_e32 v58, v29, v19
	v_mul_f32_e32 v20, v27, v58
	v_fma_f32 v22, v58, v27, -v20
	v_fmac_f32_e32 v22, v58, v28
	v_sub_f32_e32 v21, v21, v19
	v_add_f32_e32 v27, v18, v21
	v_add_f32_e32 v18, v20, v22
	v_sub_f32_e32 v21, v19, v18
	v_pk_add_f32 v[24:25], v[18:19], v[20:21] neg_lo:[0,1] neg_hi:[0,1]
	v_mov_b32_e32 v23, v18
	v_pk_add_f32 v[18:19], v[24:25], v[22:23] neg_lo:[0,1] neg_hi:[0,1]
	v_cvt_f32_i32_e32 v20, v26
	v_add_f32_e32 v19, v27, v19
	v_add_f32_e32 v18, v18, v19
	;; [unrolled: 1-line block ×4, first 2 shown]
	v_sub_f32_e32 v19, v21, v59
	v_mul_f32_e32 v18, v29, v18
	v_sub_f32_e32 v19, v58, v19
	v_add_f32_e32 v18, v19, v18
	v_add_f32_e32 v22, v21, v18
	v_mul_f32_e32 v24, v22, v22
	v_mov_b32_e32 v19, 0x3ecc95a3
	v_sub_f32_e32 v21, v22, v21
	v_fmac_f32_e32 v19, 0x3e9b6dac, v24
	v_sub_f32_e32 v18, v18, v21
	v_fmaak_f32 v19, v24, v19, 0x3f2aaada
	v_ldexp_f32 v25, v18, 1
	v_mul_f32_e32 v21, v22, v24
	v_mov_b32_e32 v18, 0x3f317218
	v_pk_mul_f32 v[18:19], v[20:21], v[18:19]
	v_ldexp_f32 v23, v22, 1
	v_fma_f32 v21, v20, s0, -v18
	v_fmamk_f32 v22, v20, 0xb102e308, v21
	v_pk_add_f32 v[20:21], v[18:19], v[22:23]
	v_mov_b32_e32 v24, v18
	v_sub_f32_e32 v23, v21, v23
	v_sub_f32_e32 v23, v19, v23
	v_add_f32_e32 v25, v25, v23
	v_pk_add_f32 v[18:19], v[20:21], v[18:19] neg_lo:[0,1] neg_hi:[0,1]
	v_pk_add_f32 v[26:27], v[20:21], v[24:25]
	v_mov_b32_e32 v23, v20
	v_mov_b32_e32 v19, v27
	v_pk_add_f32 v[28:29], v[22:23], v[18:19] neg_lo:[0,1] neg_hi:[0,1]
	v_pk_add_f32 v[18:19], v[22:23], v[18:19]
	v_mov_b32_e32 v24, v25
	v_pk_add_f32 v[22:23], v[18:19], v[20:21] op_sel:[1,0] op_sel_hi:[0,1] neg_lo:[0,1] neg_hi:[0,1]
	v_pk_add_f32 v[58:59], v[26:27], v[22:23] op_sel_hi:[1,0] neg_lo:[0,1] neg_hi:[0,1]
	v_mov_b32_e32 v26, v27
	v_mov_b32_e32 v27, v19
	v_pk_mov_b32 v[22:23], v[20:21], v[22:23] op_sel:[1,0]
	v_mov_b32_e32 v25, v20
	v_pk_add_f32 v[22:23], v[26:27], v[22:23] neg_lo:[0,1] neg_hi:[0,1]
	v_mov_b32_e32 v58, v28
	v_pk_add_f32 v[20:21], v[24:25], v[22:23] neg_lo:[0,1] neg_hi:[0,1]
	v_mov_b32_e32 v29, v19
	v_pk_add_f32 v[22:23], v[58:59], v[20:21]
	v_cmp_neq_f32_e64 s[0:1], s3, v1
	v_pk_add_f32 v[24:25], v[22:23], v[22:23] op_sel:[0,1] op_sel_hi:[1,0]
	s_nop 0
	v_pk_add_f32 v[18:19], v[18:19], v[24:25] op_sel:[1,0] op_sel_hi:[0,1]
	v_mov_b32_e32 v23, v18
	v_pk_add_f32 v[26:27], v[22:23], v[28:29] neg_lo:[0,1] neg_hi:[0,1]
	v_mov_b32_e32 v21, v24
	v_sub_f32_e32 v19, v22, v26
	v_pk_add_f32 v[20:21], v[20:21], v[26:27] neg_lo:[0,1] neg_hi:[0,1]
	v_sub_f32_e32 v19, v28, v19
	v_add_f32_e32 v19, v20, v19
	v_add_f32_e32 v19, v19, v21
	;; [unrolled: 1-line block ×3, first 2 shown]
	v_cndmask_b32_e64 v18, v60, v18, s[0:1]
	s_mov_b32 s0, 0x33800000
	v_cmp_gt_f32_e64 s[0:1], s0, v1
	s_nop 1
	v_cndmask_b32_e64 v1, v18, v1, s[0:1]
.LBB9_24:
	s_or_b64 exec, exec, s[16:17]
	v_lshl_add_u64 v[40:41], v[40:41], 0, s[12:13]
	global_load_dword v62, v[40:41], off
	v_mul_f32_e32 v72, v1, v14
	v_mul_f32_e32 v73, v1, v15
	;; [unrolled: 1-line block ×5, first 2 shown]
	v_fma_f32 v84, v72, s7, -v79
	v_rndne_f32_e32 v85, v79
	v_mul_f32_e32 v77, v1, v17
	v_mul_f32_e32 v81, 0x3fb8aa3b, v76
	v_fma_f32 v86, v73, s7, -v80
	v_rndne_f32_e32 v87, v80
	v_fmac_f32_e32 v84, 0x32a5705f, v72
	v_sub_f32_e32 v79, v79, v85
	v_mul_f32_e32 v82, 0x3fb8aa3b, v77
	v_fma_f32 v88, v76, s7, -v81
	v_rndne_f32_e32 v90, v81
	v_fmac_f32_e32 v86, 0x32a5705f, v73
	v_sub_f32_e32 v80, v80, v87
	v_add_f32_e32 v79, v79, v84
	v_fma_f32 v89, v77, s7, -v82
	v_rndne_f32_e32 v91, v82
	v_fmac_f32_e32 v88, 0x32a5705f, v76
	v_sub_f32_e32 v81, v81, v90
	v_cvt_i32_f32_e32 v85, v85
	v_add_f32_e32 v80, v80, v86
	v_exp_f32_e32 v79, v79
	v_fmac_f32_e32 v89, 0x32a5705f, v77
	v_cvt_i32_f32_e32 v87, v87
	v_sub_f32_e32 v82, v82, v91
	v_add_f32_e32 v81, v81, v88
	v_exp_f32_e32 v80, v80
	v_cvt_i32_f32_e32 v90, v90
	v_add_f32_e32 v82, v82, v89
	v_exp_f32_e32 v81, v81
	s_mov_b32 s3, 0xc2ce8ed0
	v_cvt_i32_f32_e32 v91, v91
	v_exp_f32_e32 v82, v82
	v_ldexp_f32 v79, v79, v85
	v_cmp_ngt_f32_e64 s[0:1], s3, v72
	v_ldexp_f32 v80, v80, v87
	v_ldexp_f32 v81, v81, v90
	v_cndmask_b32_e64 v79, 0, v79, s[0:1]
	v_cmp_ngt_f32_e64 s[0:1], s3, v73
	v_mov_b32_e32 v75, 0
	v_ldexp_f32 v82, v82, v91
	v_cndmask_b32_e64 v80, 0, v80, s[0:1]
	v_cmp_ngt_f32_e64 s[0:1], s3, v76
	v_mov_b32_e32 v63, 0x7f800000
	ds_read_b128 v[58:61], v75
	ds_read_b128 v[26:29], v75 offset:16
	ds_read_b128 v[22:25], v75 offset:32
	;; [unrolled: 1-line block ×3, first 2 shown]
	v_cndmask_b32_e64 v81, 0, v81, s[0:1]
	v_cmp_ngt_f32_e64 s[0:1], s3, v77
	v_mul_f32_e32 v78, v1, v10
	ds_read_b128 v[64:67], v75 offset:64
	ds_read_b128 v[68:71], v75 offset:80
	v_cndmask_b32_e64 v82, 0, v82, s[0:1]
	v_cmp_nlt_f32_e64 s[0:1], s5, v72
	v_mul_f32_e32 v83, 0x3fb8aa3b, v78
	v_fma_f32 v92, v78, s7, -v83
	v_cndmask_b32_e64 v72, v63, v79, s[0:1]
	v_cmp_nlt_f32_e64 s[0:1], s5, v73
	v_rndne_f32_e32 v93, v83
	v_fmac_f32_e32 v92, 0x32a5705f, v78
	v_cndmask_b32_e64 v73, v63, v80, s[0:1]
	v_cmp_nlt_f32_e64 s[0:1], s5, v76
	v_sub_f32_e32 v83, v83, v93
	v_add_f32_e32 v83, v83, v92
	v_cndmask_b32_e64 v76, v63, v81, s[0:1]
	v_cmp_nlt_f32_e64 s[0:1], s5, v77
	v_cvt_i32_f32_e32 v93, v93
	v_exp_f32_e32 v83, v83
	v_cndmask_b32_e64 v77, v63, v82, s[0:1]
	v_cmp_ngt_f32_e64 s[0:1], s3, v78
	v_ldexp_f32 v83, v83, v93
	s_waitcnt vmcnt(0)
	v_mul_f32_e32 v62, v1, v62
	s_waitcnt lgkmcnt(5)
	v_pk_mul_f32 v[58:59], v[62:63], v[58:59] op_sel_hi:[0,1]
	v_pk_fma_f32 v[58:59], v[42:43], v[72:73], v[58:59]
	v_mul_f32_e32 v43, v1, v11
	v_pk_mul_f32 v[60:61], v[62:63], v[60:61] op_sel_hi:[0,1]
	v_mul_f32_e32 v42, 0x3fb8aa3b, v43
	v_pk_fma_f32 v[60:61], v[44:45], v[76:77], v[60:61]
	s_waitcnt lgkmcnt(1)
	v_fma_f32 v44, v64, v58, 0
	v_fma_f32 v45, v43, s7, -v42
	v_rndne_f32_e32 v64, v42
	v_fmac_f32_e32 v45, 0x32a5705f, v43
	v_sub_f32_e32 v42, v42, v64
	v_add_f32_e32 v42, v42, v45
	v_exp_f32_e32 v45, v42
	v_cvt_i32_f32_e32 v64, v64
	v_cndmask_b32_e64 v42, 0, v83, s[0:1]
	v_cmp_nlt_f32_e64 s[0:1], s5, v78
	v_pk_mul_f32 v[26:27], v[62:63], v[26:27] op_sel_hi:[0,1]
	v_ldexp_f32 v45, v45, v64
	v_cndmask_b32_e64 v42, v63, v42, s[0:1]
	v_cmp_ngt_f32_e64 s[0:1], s3, v43
	v_fmac_f32_e32 v44, v65, v59
	v_fmac_f32_e32 v44, v66, v60
	v_cndmask_b32_e64 v45, 0, v45, s[0:1]
	v_cmp_nlt_f32_e64 s[0:1], s5, v43
	v_fmac_f32_e32 v44, v67, v61
	v_pk_mul_f32 v[28:29], v[62:63], v[28:29] op_sel_hi:[0,1]
	v_cndmask_b32_e64 v43, v63, v45, s[0:1]
	v_pk_fma_f32 v[46:47], v[46:47], v[42:43], v[26:27]
	v_mul_f32_e32 v42, v1, v12
	v_mul_f32_e32 v26, 0x3fb8aa3b, v42
	v_fma_f32 v27, v42, s7, -v26
	v_rndne_f32_e32 v43, v26
	v_fmac_f32_e32 v27, 0x32a5705f, v42
	v_sub_f32_e32 v26, v26, v43
	v_add_f32_e32 v26, v26, v27
	v_exp_f32_e32 v45, v26
	v_cvt_i32_f32_e32 v43, v43
	s_waitcnt lgkmcnt(0)
	v_pk_mul_f32 v[26:27], v[68:69], v[46:47]
	v_cmp_ngt_f32_e64 s[0:1], s3, v42
	v_add_f32_e32 v26, v44, v26
	v_add_f32_e32 v44, v26, v27
	v_mul_f32_e32 v27, v1, v13
	v_ldexp_f32 v26, v45, v43
	v_mul_f32_e32 v43, 0x3fb8aa3b, v27
	v_fma_f32 v45, v27, s7, -v43
	v_rndne_f32_e32 v64, v43
	v_fmac_f32_e32 v45, 0x32a5705f, v27
	v_sub_f32_e32 v43, v43, v64
	v_add_f32_e32 v43, v43, v45
	v_exp_f32_e32 v43, v43
	v_cvt_i32_f32_e32 v45, v64
	v_cndmask_b32_e64 v26, 0, v26, s[0:1]
	v_cmp_nlt_f32_e64 s[0:1], s5, v42
	v_pk_mul_f32 v[22:23], v[62:63], v[22:23] op_sel_hi:[0,1]
	v_ldexp_f32 v42, v43, v45
	v_cndmask_b32_e64 v26, v63, v26, s[0:1]
	v_cmp_ngt_f32_e64 s[0:1], s3, v27
	v_mul_f32_e32 v65, v1, v8
	v_pk_mul_f32 v[24:25], v[62:63], v[24:25] op_sel_hi:[0,1]
	v_cndmask_b32_e64 v42, 0, v42, s[0:1]
	v_cmp_nlt_f32_e64 s[0:1], s5, v27
	v_pk_mul_f32 v[18:19], v[62:63], v[18:19] op_sel_hi:[0,1]
	v_pk_mul_f32 v[20:21], v[62:63], v[20:21] op_sel_hi:[0,1]
	v_cndmask_b32_e64 v27, v63, v42, s[0:1]
	v_pk_fma_f32 v[48:49], v[48:49], v[26:27], v[28:29]
	v_mul_f32_e32 v28, v1, v6
	v_mul_f32_e32 v26, 0x3fb8aa3b, v28
	v_fma_f32 v27, v28, s7, -v26
	v_rndne_f32_e32 v29, v26
	v_fmac_f32_e32 v27, 0x32a5705f, v28
	v_sub_f32_e32 v26, v26, v29
	v_add_f32_e32 v26, v26, v27
	v_exp_f32_e32 v42, v26
	v_cvt_i32_f32_e32 v29, v29
	v_pk_mul_f32 v[26:27], v[70:71], v[48:49]
	v_cmp_ngt_f32_e64 s[0:1], s3, v28
	v_add_f32_e32 v26, v44, v26
	v_add_f32_e32 v64, v26, v27
	v_mul_f32_e32 v27, v1, v7
	v_ldexp_f32 v26, v42, v29
	v_mul_f32_e32 v29, 0x3fb8aa3b, v27
	v_fma_f32 v42, v27, s7, -v29
	v_rndne_f32_e32 v43, v29
	v_fmac_f32_e32 v42, 0x32a5705f, v27
	v_sub_f32_e32 v29, v29, v43
	v_add_f32_e32 v29, v29, v42
	v_exp_f32_e32 v29, v29
	v_cvt_i32_f32_e32 v42, v43
	v_cndmask_b32_e64 v26, 0, v26, s[0:1]
	v_cmp_nlt_f32_e64 s[0:1], s5, v28
	v_ldexp_f32 v28, v29, v42
	s_nop 0
	v_cndmask_b32_e64 v26, v63, v26, s[0:1]
	v_cmp_ngt_f32_e64 s[0:1], s3, v27
	s_nop 1
	v_cndmask_b32_e64 v28, 0, v28, s[0:1]
	v_cmp_nlt_f32_e64 s[0:1], s5, v27
	s_nop 1
	v_cndmask_b32_e64 v27, v63, v28, s[0:1]
	v_pk_fma_f32 v[50:51], v[50:51], v[26:27], v[22:23]
	ds_read_b128 v[26:29], v75 offset:96
	v_mul_f32_e32 v22, 0x3fb8aa3b, v65
	v_fma_f32 v23, v65, s7, -v22
	v_rndne_f32_e32 v42, v22
	v_fmac_f32_e32 v23, 0x32a5705f, v65
	v_sub_f32_e32 v22, v22, v42
	v_add_f32_e32 v22, v22, v23
	v_exp_f32_e32 v66, v22
	v_cvt_i32_f32_e32 v67, v42
	ds_read_b128 v[42:45], v75 offset:112
	s_waitcnt lgkmcnt(1)
	v_pk_mul_f32 v[22:23], v[26:27], v[50:51]
	v_cmp_ngt_f32_e64 s[0:1], s3, v65
	v_add_f32_e32 v22, v64, v22
	v_add_f32_e32 v26, v22, v23
	v_mul_f32_e32 v23, v1, v9
	v_mul_f32_e32 v27, 0x3fb8aa3b, v23
	v_ldexp_f32 v22, v66, v67
	v_fma_f32 v64, v23, s7, -v27
	v_rndne_f32_e32 v66, v27
	v_fmac_f32_e32 v64, 0x32a5705f, v23
	v_sub_f32_e32 v27, v27, v66
	v_add_f32_e32 v27, v27, v64
	v_exp_f32_e32 v27, v27
	v_cvt_i32_f32_e32 v64, v66
	v_cndmask_b32_e64 v22, 0, v22, s[0:1]
	v_cmp_nlt_f32_e64 s[0:1], s5, v65
	v_ldexp_f32 v27, v27, v64
	s_nop 0
	v_cndmask_b32_e64 v22, v63, v22, s[0:1]
	v_cmp_ngt_f32_e64 s[0:1], s3, v23
	s_nop 1
	v_cndmask_b32_e64 v27, 0, v27, s[0:1]
	v_cmp_nlt_f32_e64 s[0:1], s5, v23
	s_nop 1
	v_cndmask_b32_e64 v23, v63, v27, s[0:1]
	v_pk_fma_f32 v[52:53], v[52:53], v[22:23], v[24:25]
	v_mul_f32_e32 v24, v1, v2
	v_mul_f32_e32 v22, 0x3fb8aa3b, v24
	v_fma_f32 v23, v24, s7, -v22
	v_rndne_f32_e32 v25, v22
	v_fmac_f32_e32 v23, 0x32a5705f, v24
	v_sub_f32_e32 v22, v22, v25
	v_add_f32_e32 v22, v22, v23
	v_exp_f32_e32 v27, v22
	v_cvt_i32_f32_e32 v25, v25
	v_pk_mul_f32 v[22:23], v[28:29], v[52:53]
	v_cmp_ngt_f32_e64 s[0:1], s3, v24
	v_add_f32_e32 v22, v26, v22
	v_add_f32_e32 v26, v22, v23
	v_mul_f32_e32 v23, v1, v3
	v_ldexp_f32 v22, v27, v25
	v_mul_f32_e32 v25, 0x3fb8aa3b, v23
	v_fma_f32 v27, v23, s7, -v25
	v_rndne_f32_e32 v28, v25
	v_fmac_f32_e32 v27, 0x32a5705f, v23
	v_sub_f32_e32 v25, v25, v28
	v_add_f32_e32 v25, v25, v27
	v_exp_f32_e32 v25, v25
	v_cvt_i32_f32_e32 v27, v28
	v_cndmask_b32_e64 v22, 0, v22, s[0:1]
	v_cmp_nlt_f32_e64 s[0:1], s5, v24
	v_ldexp_f32 v24, v25, v27
	s_nop 0
	v_cndmask_b32_e64 v22, v63, v22, s[0:1]
	v_cmp_ngt_f32_e64 s[0:1], s3, v23
	s_nop 1
	v_cndmask_b32_e64 v24, 0, v24, s[0:1]
	v_cmp_nlt_f32_e64 s[0:1], s5, v23
	s_nop 1
	v_cndmask_b32_e64 v23, v63, v24, s[0:1]
	v_pk_fma_f32 v[54:55], v[54:55], v[22:23], v[18:19]
	v_mul_f32_e32 v22, v1, v4
	v_mul_f32_e32 v18, 0x3fb8aa3b, v22
	v_fma_f32 v19, v22, s7, -v18
	v_rndne_f32_e32 v23, v18
	v_fmac_f32_e32 v19, 0x32a5705f, v22
	v_sub_f32_e32 v18, v18, v23
	v_add_f32_e32 v18, v18, v19
	v_exp_f32_e32 v24, v18
	v_cvt_i32_f32_e32 v23, v23
	s_waitcnt lgkmcnt(0)
	v_pk_mul_f32 v[18:19], v[42:43], v[54:55]
	v_mul_f32_e32 v1, v1, v5
	v_add_f32_e32 v18, v26, v18
	v_add_f32_e32 v25, v18, v19
	v_mul_f32_e32 v19, 0x3fb8aa3b, v1
	v_ldexp_f32 v18, v24, v23
	v_fma_f32 v23, v1, s7, -v19
	v_rndne_f32_e32 v24, v19
	v_fmac_f32_e32 v23, 0x32a5705f, v1
	v_sub_f32_e32 v19, v19, v24
	v_add_f32_e32 v19, v19, v23
	v_exp_f32_e32 v19, v19
	v_cvt_i32_f32_e32 v23, v24
	v_cmp_ngt_f32_e64 s[0:1], s3, v22
	v_ldexp_f32 v19, v19, v23
	s_nop 0
	v_cndmask_b32_e64 v18, 0, v18, s[0:1]
	v_cmp_nlt_f32_e64 s[0:1], s5, v22
	s_nop 1
	v_cndmask_b32_e64 v18, v63, v18, s[0:1]
	v_cmp_ngt_f32_e64 s[0:1], s3, v1
	s_nop 1
	v_cndmask_b32_e64 v19, 0, v19, s[0:1]
	v_cmp_nlt_f32_e64 s[0:1], s5, v1
	s_nop 1
	v_cndmask_b32_e64 v19, v63, v19, s[0:1]
	v_pk_fma_f32 v[56:57], v[56:57], v[18:19], v[20:21]
	v_mad_i64_i32 v[42:43], s[0:1], s10, 20, v[30:31]
	v_pk_mul_f32 v[18:19], v[44:45], v[56:57]
	s_nop 0
	v_add_f32_e32 v1, v25, v18
	v_add_f32_e32 v1, v1, v19
	global_store_dword v[42:43], v1, off
	s_barrier
	s_and_saveexec_b64 s[0:1], vcc
	s_cbranch_execz .LBB9_26
; %bb.25:
	v_mad_i64_i32 v[18:19], s[16:17], s4, 24, v[38:39]
	global_load_dword v1, v[18:19], off
	v_mad_i64_i32 v[18:19], s[16:17], s6, 24, v[36:37]
	global_load_dword v18, v[18:19], off
	s_waitcnt vmcnt(1)
	ds_write_b32 v0, v1
	s_waitcnt vmcnt(0)
	ds_write_b32 v74, v18
.LBB9_26:
	s_or_b64 exec, exec, s[0:1]
	v_lshl_add_u64 v[44:45], v[32:33], 0, s[14:15]
	s_waitcnt lgkmcnt(0)
	s_barrier
	global_load_dword v1, v[44:45], off
	s_mov_b32 s0, 0x41a00000
	s_waitcnt vmcnt(0)
	v_cmp_ge_f32_e64 s[0:1], s0, v1
	s_and_saveexec_b64 s[16:17], s[0:1]
	s_cbranch_execz .LBB9_28
; %bb.27:
	v_mul_f32_e32 v18, 0x3fb8aa3b, v1
	s_mov_b32 s0, 0x3fb8aa3b
	v_rndne_f32_e32 v19, v18
	v_sub_f32_e32 v20, v18, v19
	v_fma_f32 v18, v1, s0, -v18
	v_fmamk_f32 v18, v1, 0x32a5705f, v18
	v_add_f32_e32 v18, v20, v18
	v_exp_f32_e32 v18, v18
	v_cvt_i32_f32_e32 v19, v19
	s_mov_b32 s0, 0xc2ce8ed0
	v_cmp_ngt_f32_e64 s[0:1], s0, v1
	v_mov_b32_e32 v32, 0x7f800000
	v_ldexp_f32 v18, v18, v19
	v_cndmask_b32_e64 v18, 0, v18, s[0:1]
	s_mov_b32 s0, 0x42b17218
	v_cmp_nlt_f32_e64 s[0:1], s0, v1
	s_mov_b32 s3, 0x7f800000
	s_nop 0
	v_cndmask_b32_e64 v1, v32, v18, s[0:1]
	v_add_f32_e32 v20, 1.0, v1
	v_add_f32_e32 v18, -1.0, v20
	v_sub_f32_e32 v19, v18, v20
	v_add_f32_e32 v19, 1.0, v19
	v_sub_f32_e32 v18, v1, v18
	v_add_f32_e32 v21, v18, v19
	v_frexp_mant_f32_e32 v22, v20
	s_mov_b32 s0, 0x3f2aaaab
	v_cvt_f64_f32_e32 v[18:19], v20
	v_frexp_exp_i32_f64_e32 v18, v[18:19]
	v_cmp_gt_f32_e64 s[0:1], s0, v22
	s_nop 1
	v_subbrev_co_u32_e64 v26, s[0:1], 0, v18, s[0:1]
	v_sub_u32_e32 v18, 0, v26
	v_ldexp_f32 v19, v20, v18
	v_add_f32_e32 v20, -1.0, v19
	v_add_f32_e32 v22, 1.0, v19
	v_ldexp_f32 v18, v21, v18
	v_add_f32_e32 v21, 1.0, v20
	v_add_f32_e32 v23, -1.0, v22
	v_sub_f32_e32 v21, v19, v21
	v_sub_f32_e32 v19, v19, v23
	v_add_f32_e32 v21, v18, v21
	v_add_f32_e32 v18, v18, v19
	;; [unrolled: 1-line block ×3, first 2 shown]
	v_rcp_f32_e32 v29, v27
	v_sub_f32_e32 v19, v22, v27
	v_add_f32_e32 v28, v18, v19
	v_add_f32_e32 v19, v20, v21
	v_mul_f32_e32 v31, v19, v29
	v_sub_f32_e32 v18, v20, v19
	v_mul_f32_e32 v20, v27, v31
	v_fma_f32 v22, v31, v27, -v20
	v_fmac_f32_e32 v22, v31, v28
	v_add_f32_e32 v30, v21, v18
	v_add_f32_e32 v18, v20, v22
	v_sub_f32_e32 v21, v19, v18
	v_pk_add_f32 v[24:25], v[18:19], v[20:21] neg_lo:[0,1] neg_hi:[0,1]
	v_mov_b32_e32 v23, v18
	v_pk_add_f32 v[18:19], v[24:25], v[22:23] neg_lo:[0,1] neg_hi:[0,1]
	s_mov_b32 s0, 0x3f317218
	v_add_f32_e32 v19, v30, v19
	v_add_f32_e32 v18, v18, v19
	;; [unrolled: 1-line block ×3, first 2 shown]
	v_mul_f32_e32 v30, v29, v19
	v_mul_f32_e32 v20, v27, v30
	v_fma_f32 v22, v30, v27, -v20
	v_fmac_f32_e32 v22, v30, v28
	v_sub_f32_e32 v21, v21, v19
	v_add_f32_e32 v27, v18, v21
	v_add_f32_e32 v18, v20, v22
	v_sub_f32_e32 v21, v19, v18
	v_pk_add_f32 v[24:25], v[18:19], v[20:21] neg_lo:[0,1] neg_hi:[0,1]
	v_mov_b32_e32 v23, v18
	v_pk_add_f32 v[18:19], v[24:25], v[22:23] neg_lo:[0,1] neg_hi:[0,1]
	v_cvt_f32_i32_e32 v20, v26
	v_add_f32_e32 v19, v27, v19
	v_add_f32_e32 v18, v18, v19
	;; [unrolled: 1-line block ×4, first 2 shown]
	v_sub_f32_e32 v19, v21, v31
	v_mul_f32_e32 v18, v29, v18
	v_sub_f32_e32 v19, v30, v19
	v_add_f32_e32 v18, v19, v18
	v_add_f32_e32 v22, v21, v18
	v_mul_f32_e32 v24, v22, v22
	v_mov_b32_e32 v19, 0x3ecc95a3
	v_sub_f32_e32 v21, v22, v21
	v_fmac_f32_e32 v19, 0x3e9b6dac, v24
	v_sub_f32_e32 v18, v18, v21
	v_fmaak_f32 v19, v24, v19, 0x3f2aaada
	v_ldexp_f32 v25, v18, 1
	v_mul_f32_e32 v21, v22, v24
	v_mov_b32_e32 v18, 0x3f317218
	v_pk_mul_f32 v[18:19], v[20:21], v[18:19]
	v_ldexp_f32 v23, v22, 1
	v_fma_f32 v21, v20, s0, -v18
	v_fmamk_f32 v22, v20, 0xb102e308, v21
	v_pk_add_f32 v[20:21], v[18:19], v[22:23]
	v_mov_b32_e32 v24, v18
	v_sub_f32_e32 v23, v21, v23
	v_sub_f32_e32 v23, v19, v23
	v_add_f32_e32 v25, v25, v23
	v_pk_add_f32 v[18:19], v[20:21], v[18:19] neg_lo:[0,1] neg_hi:[0,1]
	v_pk_add_f32 v[26:27], v[20:21], v[24:25]
	v_mov_b32_e32 v23, v20
	v_mov_b32_e32 v19, v27
	v_pk_add_f32 v[28:29], v[22:23], v[18:19] neg_lo:[0,1] neg_hi:[0,1]
	v_pk_add_f32 v[18:19], v[22:23], v[18:19]
	v_mov_b32_e32 v24, v25
	v_pk_add_f32 v[22:23], v[18:19], v[20:21] op_sel:[1,0] op_sel_hi:[0,1] neg_lo:[0,1] neg_hi:[0,1]
	v_pk_add_f32 v[30:31], v[26:27], v[22:23] op_sel_hi:[1,0] neg_lo:[0,1] neg_hi:[0,1]
	v_mov_b32_e32 v26, v27
	v_mov_b32_e32 v27, v19
	v_pk_mov_b32 v[22:23], v[20:21], v[22:23] op_sel:[1,0]
	v_mov_b32_e32 v25, v20
	v_pk_add_f32 v[22:23], v[26:27], v[22:23] neg_lo:[0,1] neg_hi:[0,1]
	v_mov_b32_e32 v30, v28
	v_pk_add_f32 v[20:21], v[24:25], v[22:23] neg_lo:[0,1] neg_hi:[0,1]
	v_mov_b32_e32 v29, v19
	v_pk_add_f32 v[22:23], v[30:31], v[20:21]
	v_cmp_neq_f32_e64 s[0:1], s3, v1
	v_pk_add_f32 v[24:25], v[22:23], v[22:23] op_sel:[0,1] op_sel_hi:[1,0]
	s_nop 0
	v_pk_add_f32 v[18:19], v[18:19], v[24:25] op_sel:[1,0] op_sel_hi:[0,1]
	v_mov_b32_e32 v23, v18
	v_pk_add_f32 v[26:27], v[22:23], v[28:29] neg_lo:[0,1] neg_hi:[0,1]
	v_mov_b32_e32 v21, v24
	v_sub_f32_e32 v19, v22, v26
	v_pk_add_f32 v[20:21], v[20:21], v[26:27] neg_lo:[0,1] neg_hi:[0,1]
	v_sub_f32_e32 v19, v28, v19
	v_add_f32_e32 v19, v20, v19
	v_add_f32_e32 v19, v19, v21
	;; [unrolled: 1-line block ×3, first 2 shown]
	v_cndmask_b32_e64 v18, v32, v18, s[0:1]
	s_mov_b32 s0, 0x33800000
	v_cmp_gt_f32_e64 s[0:1], s0, v1
	s_nop 1
	v_cndmask_b32_e64 v1, v18, v1, s[0:1]
.LBB9_28:
	s_or_b64 exec, exec, s[16:17]
	v_lshl_add_u64 v[40:41], v[40:41], 0, s[12:13]
	global_load_dword v62, v[40:41], off
	v_mul_f32_e32 v72, v1, v14
	v_mul_f32_e32 v73, v1, v15
	;; [unrolled: 1-line block ×5, first 2 shown]
	v_fma_f32 v84, v72, s7, -v78
	v_rndne_f32_e32 v85, v78
	v_mul_f32_e32 v77, v1, v17
	v_mul_f32_e32 v81, 0x3fb8aa3b, v76
	v_fma_f32 v86, v73, s7, -v79
	v_rndne_f32_e32 v87, v79
	v_fmac_f32_e32 v84, 0x32a5705f, v72
	v_sub_f32_e32 v78, v78, v85
	v_mul_f32_e32 v82, 0x3fb8aa3b, v77
	v_fma_f32 v88, v76, s7, -v81
	v_rndne_f32_e32 v90, v81
	v_fmac_f32_e32 v86, 0x32a5705f, v73
	v_sub_f32_e32 v79, v79, v87
	v_add_f32_e32 v78, v78, v84
	v_fma_f32 v89, v77, s7, -v82
	v_rndne_f32_e32 v91, v82
	v_fmac_f32_e32 v88, 0x32a5705f, v76
	v_sub_f32_e32 v81, v81, v90
	v_cvt_i32_f32_e32 v85, v85
	v_add_f32_e32 v79, v79, v86
	v_exp_f32_e32 v78, v78
	v_fmac_f32_e32 v89, 0x32a5705f, v77
	v_cvt_i32_f32_e32 v87, v87
	v_sub_f32_e32 v82, v82, v91
	v_add_f32_e32 v81, v81, v88
	v_exp_f32_e32 v79, v79
	v_cvt_i32_f32_e32 v90, v90
	v_add_f32_e32 v82, v82, v89
	v_exp_f32_e32 v81, v81
	s_mov_b32 s3, 0xc2ce8ed0
	v_cvt_i32_f32_e32 v91, v91
	v_exp_f32_e32 v82, v82
	v_ldexp_f32 v78, v78, v85
	v_cmp_ngt_f32_e64 s[0:1], s3, v72
	v_ldexp_f32 v79, v79, v87
	v_ldexp_f32 v81, v81, v90
	v_cndmask_b32_e64 v78, 0, v78, s[0:1]
	v_cmp_ngt_f32_e64 s[0:1], s3, v73
	v_mov_b32_e32 v75, 0
	v_ldexp_f32 v82, v82, v91
	v_cndmask_b32_e64 v79, 0, v79, s[0:1]
	v_cmp_ngt_f32_e64 s[0:1], s3, v76
	v_mov_b32_e32 v63, 0x7f800000
	ds_read_b128 v[30:33], v75
	ds_read_b128 v[26:29], v75 offset:16
	ds_read_b128 v[22:25], v75 offset:32
	;; [unrolled: 1-line block ×3, first 2 shown]
	v_cndmask_b32_e64 v81, 0, v81, s[0:1]
	v_cmp_ngt_f32_e64 s[0:1], s3, v77
	v_mul_f32_e32 v80, v1, v10
	ds_read_b128 v[64:67], v75 offset:64
	ds_read_b128 v[68:71], v75 offset:80
	v_cndmask_b32_e64 v82, 0, v82, s[0:1]
	v_cmp_nlt_f32_e64 s[0:1], s5, v72
	v_mul_f32_e32 v83, 0x3fb8aa3b, v80
	v_fma_f32 v92, v80, s7, -v83
	v_cndmask_b32_e64 v72, v63, v78, s[0:1]
	v_cmp_nlt_f32_e64 s[0:1], s5, v73
	v_rndne_f32_e32 v93, v83
	v_fmac_f32_e32 v92, 0x32a5705f, v80
	v_cndmask_b32_e64 v73, v63, v79, s[0:1]
	v_cmp_nlt_f32_e64 s[0:1], s5, v76
	v_sub_f32_e32 v83, v83, v93
	v_add_f32_e32 v83, v83, v92
	v_cndmask_b32_e64 v76, v63, v81, s[0:1]
	v_cmp_nlt_f32_e64 s[0:1], s5, v77
	v_cvt_i32_f32_e32 v93, v93
	v_exp_f32_e32 v83, v83
	v_cndmask_b32_e64 v77, v63, v82, s[0:1]
	v_cmp_ngt_f32_e64 s[0:1], s3, v80
	v_ldexp_f32 v83, v83, v93
	s_waitcnt vmcnt(0)
	v_mul_f32_e32 v62, v1, v62
	s_waitcnt lgkmcnt(5)
	v_pk_mul_f32 v[30:31], v[62:63], v[30:31] op_sel_hi:[0,1]
	v_pk_mul_f32 v[78:79], v[62:63], v[32:33] op_sel_hi:[0,1]
	v_pk_fma_f32 v[32:33], v[58:59], v[72:73], v[30:31]
	v_mul_f32_e32 v59, v1, v11
	v_mul_f32_e32 v58, 0x3fb8aa3b, v59
	v_pk_fma_f32 v[30:31], v[60:61], v[76:77], v[78:79]
	s_waitcnt lgkmcnt(1)
	v_fma_f32 v60, v64, v32, 0
	v_fma_f32 v61, v59, s7, -v58
	v_rndne_f32_e32 v64, v58
	v_fmac_f32_e32 v61, 0x32a5705f, v59
	v_sub_f32_e32 v58, v58, v64
	v_add_f32_e32 v58, v58, v61
	v_exp_f32_e32 v61, v58
	v_cvt_i32_f32_e32 v64, v64
	v_cndmask_b32_e64 v58, 0, v83, s[0:1]
	v_cmp_nlt_f32_e64 s[0:1], s5, v80
	v_pk_mul_f32 v[26:27], v[62:63], v[26:27] op_sel_hi:[0,1]
	v_ldexp_f32 v61, v61, v64
	v_cndmask_b32_e64 v58, v63, v58, s[0:1]
	v_cmp_ngt_f32_e64 s[0:1], s3, v59
	v_fmac_f32_e32 v60, v65, v33
	v_fmac_f32_e32 v60, v66, v30
	v_cndmask_b32_e64 v61, 0, v61, s[0:1]
	v_cmp_nlt_f32_e64 s[0:1], s5, v59
	v_fmac_f32_e32 v60, v67, v31
	v_pk_mul_f32 v[28:29], v[62:63], v[28:29] op_sel_hi:[0,1]
	v_cndmask_b32_e64 v59, v63, v61, s[0:1]
	v_pk_fma_f32 v[26:27], v[46:47], v[58:59], v[26:27]
	v_mul_f32_e32 v58, v1, v12
	v_mul_f32_e32 v46, 0x3fb8aa3b, v58
	v_fma_f32 v47, v58, s7, -v46
	v_rndne_f32_e32 v59, v46
	v_fmac_f32_e32 v47, 0x32a5705f, v58
	v_sub_f32_e32 v46, v46, v59
	v_add_f32_e32 v46, v46, v47
	v_exp_f32_e32 v61, v46
	v_cvt_i32_f32_e32 v59, v59
	s_waitcnt lgkmcnt(0)
	v_pk_mul_f32 v[46:47], v[68:69], v[26:27]
	v_cmp_ngt_f32_e64 s[0:1], s3, v58
	v_add_f32_e32 v46, v60, v46
	v_add_f32_e32 v60, v46, v47
	v_mul_f32_e32 v47, v1, v13
	v_ldexp_f32 v46, v61, v59
	v_mul_f32_e32 v59, 0x3fb8aa3b, v47
	v_fma_f32 v61, v47, s7, -v59
	v_rndne_f32_e32 v64, v59
	v_fmac_f32_e32 v61, 0x32a5705f, v47
	v_sub_f32_e32 v59, v59, v64
	v_add_f32_e32 v59, v59, v61
	v_exp_f32_e32 v59, v59
	v_cvt_i32_f32_e32 v61, v64
	v_cndmask_b32_e64 v46, 0, v46, s[0:1]
	v_cmp_nlt_f32_e64 s[0:1], s5, v58
	v_pk_mul_f32 v[22:23], v[62:63], v[22:23] op_sel_hi:[0,1]
	v_ldexp_f32 v58, v59, v61
	v_cndmask_b32_e64 v46, v63, v46, s[0:1]
	v_cmp_ngt_f32_e64 s[0:1], s3, v47
	v_pk_mul_f32 v[24:25], v[62:63], v[24:25] op_sel_hi:[0,1]
	v_pk_mul_f32 v[18:19], v[62:63], v[18:19] op_sel_hi:[0,1]
	v_cndmask_b32_e64 v58, 0, v58, s[0:1]
	v_cmp_nlt_f32_e64 s[0:1], s5, v47
	v_pk_mul_f32 v[20:21], v[62:63], v[20:21] op_sel_hi:[0,1]
	s_nop 0
	v_cndmask_b32_e64 v47, v63, v58, s[0:1]
	v_pk_fma_f32 v[28:29], v[48:49], v[46:47], v[28:29]
	v_mul_f32_e32 v48, v1, v6
	v_mul_f32_e32 v46, 0x3fb8aa3b, v48
	v_fma_f32 v47, v48, s7, -v46
	v_rndne_f32_e32 v49, v46
	v_fmac_f32_e32 v47, 0x32a5705f, v48
	v_sub_f32_e32 v46, v46, v49
	v_add_f32_e32 v46, v46, v47
	v_exp_f32_e32 v58, v46
	v_cvt_i32_f32_e32 v49, v49
	v_pk_mul_f32 v[46:47], v[70:71], v[28:29]
	v_cmp_ngt_f32_e64 s[0:1], s3, v48
	v_add_f32_e32 v46, v60, v46
	v_add_f32_e32 v64, v46, v47
	v_mul_f32_e32 v47, v1, v7
	v_ldexp_f32 v46, v58, v49
	v_mul_f32_e32 v49, 0x3fb8aa3b, v47
	v_fma_f32 v58, v47, s7, -v49
	v_rndne_f32_e32 v59, v49
	v_fmac_f32_e32 v58, 0x32a5705f, v47
	v_sub_f32_e32 v49, v49, v59
	v_add_f32_e32 v49, v49, v58
	v_exp_f32_e32 v49, v49
	v_cvt_i32_f32_e32 v58, v59
	v_cndmask_b32_e64 v46, 0, v46, s[0:1]
	v_cmp_nlt_f32_e64 s[0:1], s5, v48
	v_ldexp_f32 v48, v49, v58
	s_nop 0
	v_cndmask_b32_e64 v46, v63, v46, s[0:1]
	v_cmp_ngt_f32_e64 s[0:1], s3, v47
	s_nop 1
	v_cndmask_b32_e64 v48, 0, v48, s[0:1]
	v_cmp_nlt_f32_e64 s[0:1], s5, v47
	s_nop 1
	v_cndmask_b32_e64 v47, v63, v48, s[0:1]
	v_pk_fma_f32 v[22:23], v[50:51], v[46:47], v[22:23]
	v_mul_f32_e32 v50, v1, v8
	ds_read_b128 v[46:49], v75 offset:96
	v_mul_f32_e32 v51, 0x3fb8aa3b, v50
	v_fma_f32 v58, v50, s7, -v51
	v_rndne_f32_e32 v59, v51
	v_fmac_f32_e32 v58, 0x32a5705f, v50
	v_sub_f32_e32 v51, v51, v59
	v_add_f32_e32 v51, v51, v58
	v_exp_f32_e32 v51, v51
	v_cvt_i32_f32_e32 v65, v59
	ds_read_b128 v[58:61], v75 offset:112
	s_waitcnt lgkmcnt(1)
	v_pk_mul_f32 v[46:47], v[46:47], v[22:23]
	v_cmp_ngt_f32_e64 s[0:1], s3, v50
	v_add_f32_e32 v46, v64, v46
	v_add_f32_e32 v64, v46, v47
	v_mul_f32_e32 v47, v1, v9
	v_ldexp_f32 v46, v51, v65
	v_mul_f32_e32 v51, 0x3fb8aa3b, v47
	v_fma_f32 v65, v47, s7, -v51
	v_rndne_f32_e32 v66, v51
	v_fmac_f32_e32 v65, 0x32a5705f, v47
	v_sub_f32_e32 v51, v51, v66
	v_add_f32_e32 v51, v51, v65
	v_exp_f32_e32 v51, v51
	v_cvt_i32_f32_e32 v65, v66
	v_cndmask_b32_e64 v46, 0, v46, s[0:1]
	v_cmp_nlt_f32_e64 s[0:1], s5, v50
	v_ldexp_f32 v50, v51, v65
	s_nop 0
	v_cndmask_b32_e64 v46, v63, v46, s[0:1]
	v_cmp_ngt_f32_e64 s[0:1], s3, v47
	s_nop 1
	v_cndmask_b32_e64 v50, 0, v50, s[0:1]
	v_cmp_nlt_f32_e64 s[0:1], s5, v47
	s_nop 1
	v_cndmask_b32_e64 v47, v63, v50, s[0:1]
	v_mul_f32_e32 v50, v1, v2
	v_pk_fma_f32 v[24:25], v[52:53], v[46:47], v[24:25]
	v_mul_f32_e32 v46, 0x3fb8aa3b, v50
	v_fma_f32 v47, v50, s7, -v46
	v_rndne_f32_e32 v51, v46
	v_fmac_f32_e32 v47, 0x32a5705f, v50
	v_sub_f32_e32 v46, v46, v51
	v_add_f32_e32 v46, v46, v47
	v_exp_f32_e32 v52, v46
	v_cvt_i32_f32_e32 v51, v51
	v_pk_mul_f32 v[46:47], v[48:49], v[24:25]
	v_cmp_ngt_f32_e64 s[0:1], s3, v50
	v_add_f32_e32 v46, v64, v46
	v_add_f32_e32 v48, v46, v47
	v_mul_f32_e32 v47, v1, v3
	v_mul_f32_e32 v49, 0x3fb8aa3b, v47
	v_ldexp_f32 v46, v52, v51
	v_fma_f32 v51, v47, s7, -v49
	v_rndne_f32_e32 v52, v49
	v_fmac_f32_e32 v51, 0x32a5705f, v47
	v_sub_f32_e32 v49, v49, v52
	v_add_f32_e32 v49, v49, v51
	v_exp_f32_e32 v49, v49
	v_cvt_i32_f32_e32 v51, v52
	v_cndmask_b32_e64 v46, 0, v46, s[0:1]
	v_cmp_nlt_f32_e64 s[0:1], s5, v50
	v_ldexp_f32 v49, v49, v51
	s_nop 0
	v_cndmask_b32_e64 v46, v63, v46, s[0:1]
	v_cmp_ngt_f32_e64 s[0:1], s3, v47
	s_nop 1
	v_cndmask_b32_e64 v49, 0, v49, s[0:1]
	v_cmp_nlt_f32_e64 s[0:1], s5, v47
	s_nop 1
	v_cndmask_b32_e64 v47, v63, v49, s[0:1]
	v_mul_f32_e32 v49, v1, v4
	v_pk_fma_f32 v[18:19], v[54:55], v[46:47], v[18:19]
	v_mul_f32_e32 v46, 0x3fb8aa3b, v49
	v_fma_f32 v47, v49, s7, -v46
	v_rndne_f32_e32 v50, v46
	v_fmac_f32_e32 v47, 0x32a5705f, v49
	v_sub_f32_e32 v46, v46, v50
	v_add_f32_e32 v46, v46, v47
	v_exp_f32_e32 v51, v46
	v_cvt_i32_f32_e32 v50, v50
	s_waitcnt lgkmcnt(0)
	v_pk_mul_f32 v[46:47], v[58:59], v[18:19]
	v_mul_f32_e32 v1, v1, v5
	v_add_f32_e32 v46, v48, v46
	v_add_f32_e32 v48, v46, v47
	v_mul_f32_e32 v47, 0x3fb8aa3b, v1
	v_ldexp_f32 v46, v51, v50
	v_fma_f32 v50, v1, s7, -v47
	v_rndne_f32_e32 v51, v47
	v_fmac_f32_e32 v50, 0x32a5705f, v1
	v_sub_f32_e32 v47, v47, v51
	v_add_f32_e32 v47, v47, v50
	v_exp_f32_e32 v47, v47
	v_cvt_i32_f32_e32 v50, v51
	v_cmp_ngt_f32_e64 s[0:1], s3, v49
	v_ldexp_f32 v47, v47, v50
	s_nop 0
	v_cndmask_b32_e64 v46, 0, v46, s[0:1]
	v_cmp_nlt_f32_e64 s[0:1], s5, v49
	s_nop 1
	v_cndmask_b32_e64 v46, v63, v46, s[0:1]
	v_cmp_ngt_f32_e64 s[0:1], s3, v1
	s_nop 1
	v_cndmask_b32_e64 v47, 0, v47, s[0:1]
	v_cmp_nlt_f32_e64 s[0:1], s5, v1
	s_nop 1
	v_cndmask_b32_e64 v47, v63, v47, s[0:1]
	v_pk_fma_f32 v[20:21], v[56:57], v[46:47], v[20:21]
	s_lshl_b64 s[0:1], s[10:11], 2
	v_pk_mul_f32 v[46:47], v[60:61], v[20:21]
	v_lshl_add_u64 v[42:43], v[42:43], 0, s[0:1]
	v_add_f32_e32 v1, v48, v46
	v_add_f32_e32 v1, v1, v47
	global_store_dword v[42:43], v1, off
	s_barrier
	s_and_saveexec_b64 s[10:11], vcc
	s_cbranch_execz .LBB9_30
; %bb.29:
	v_mad_i64_i32 v[38:39], s[4:5], s4, 28, v[38:39]
	global_load_dword v1, v[38:39], off
	v_mad_i64_i32 v[36:37], s[4:5], s6, 28, v[36:37]
	global_load_dword v36, v[36:37], off
	s_waitcnt vmcnt(1)
	ds_write_b32 v0, v1
	s_waitcnt vmcnt(0)
	ds_write_b32 v74, v36
.LBB9_30:
	s_or_b64 exec, exec, s[10:11]
	v_lshl_add_u64 v[0:1], v[44:45], 0, s[14:15]
	s_waitcnt lgkmcnt(0)
	s_barrier
	global_load_dword v1, v[0:1], off
	s_mov_b32 s3, 0x41a00000
	s_waitcnt vmcnt(0)
	v_cmp_ge_f32_e32 vcc, s3, v1
	s_and_saveexec_b64 s[4:5], vcc
	s_cbranch_execz .LBB9_32
; %bb.31:
	v_mul_f32_e32 v0, 0x3fb8aa3b, v1
	s_mov_b32 s3, 0x3fb8aa3b
	v_rndne_f32_e32 v36, v0
	v_sub_f32_e32 v37, v0, v36
	v_fma_f32 v0, v1, s3, -v0
	v_fmamk_f32 v0, v1, 0x32a5705f, v0
	v_add_f32_e32 v0, v37, v0
	v_exp_f32_e32 v0, v0
	v_cvt_i32_f32_e32 v36, v36
	s_mov_b32 s3, 0xc2ce8ed0
	v_cmp_ngt_f32_e32 vcc, s3, v1
	s_mov_b32 s3, 0x42b17218
	v_ldexp_f32 v0, v0, v36
	v_cndmask_b32_e32 v0, 0, v0, vcc
	v_mov_b32_e32 v52, 0x7f800000
	v_cmp_nlt_f32_e32 vcc, s3, v1
	s_mov_b32 s3, 0x3f2aaaab
	s_mov_b32 s6, 0x7f800000
	v_cndmask_b32_e32 v53, v52, v0, vcc
	v_add_f32_e32 v36, 1.0, v53
	v_add_f32_e32 v0, -1.0, v36
	v_sub_f32_e32 v1, v0, v36
	v_add_f32_e32 v1, 1.0, v1
	v_sub_f32_e32 v0, v53, v0
	v_add_f32_e32 v37, v0, v1
	v_frexp_mant_f32_e32 v38, v36
	v_cvt_f64_f32_e32 v[0:1], v36
	v_frexp_exp_i32_f64_e32 v0, v[0:1]
	v_cmp_gt_f32_e32 vcc, s3, v38
	s_mov_b32 s3, 0x3f317218
	s_nop 0
	v_subbrev_co_u32_e32 v46, vcc, 0, v0, vcc
	v_sub_u32_e32 v0, 0, v46
	v_ldexp_f32 v1, v36, v0
	v_add_f32_e32 v36, -1.0, v1
	v_add_f32_e32 v38, 1.0, v1
	v_ldexp_f32 v0, v37, v0
	v_add_f32_e32 v37, 1.0, v36
	v_add_f32_e32 v39, -1.0, v38
	v_sub_f32_e32 v37, v1, v37
	v_sub_f32_e32 v1, v1, v39
	v_add_f32_e32 v37, v0, v37
	v_add_f32_e32 v0, v0, v1
	;; [unrolled: 1-line block ×3, first 2 shown]
	v_rcp_f32_e32 v49, v47
	v_sub_f32_e32 v1, v38, v47
	v_add_f32_e32 v48, v0, v1
	v_add_f32_e32 v1, v36, v37
	v_mul_f32_e32 v51, v1, v49
	v_sub_f32_e32 v0, v36, v1
	v_mul_f32_e32 v36, v47, v51
	v_fma_f32 v38, v51, v47, -v36
	v_fmac_f32_e32 v38, v51, v48
	v_add_f32_e32 v50, v37, v0
	v_add_f32_e32 v0, v36, v38
	v_sub_f32_e32 v37, v1, v0
	v_pk_add_f32 v[44:45], v[0:1], v[36:37] neg_lo:[0,1] neg_hi:[0,1]
	v_mov_b32_e32 v39, v0
	v_pk_add_f32 v[0:1], v[44:45], v[38:39] neg_lo:[0,1] neg_hi:[0,1]
	v_cmp_neq_f32_e32 vcc, s6, v53
	v_add_f32_e32 v1, v50, v1
	v_add_f32_e32 v0, v0, v1
	;; [unrolled: 1-line block ×3, first 2 shown]
	v_mul_f32_e32 v50, v49, v1
	v_mul_f32_e32 v36, v47, v50
	v_fma_f32 v38, v50, v47, -v36
	v_fmac_f32_e32 v38, v50, v48
	v_sub_f32_e32 v37, v37, v1
	v_add_f32_e32 v47, v0, v37
	v_add_f32_e32 v0, v36, v38
	v_sub_f32_e32 v37, v1, v0
	v_pk_add_f32 v[44:45], v[0:1], v[36:37] neg_lo:[0,1] neg_hi:[0,1]
	v_mov_b32_e32 v39, v0
	v_pk_add_f32 v[0:1], v[44:45], v[38:39] neg_lo:[0,1] neg_hi:[0,1]
	v_cvt_f32_i32_e32 v36, v46
	v_add_f32_e32 v1, v47, v1
	v_add_f32_e32 v0, v0, v1
	;; [unrolled: 1-line block ×4, first 2 shown]
	v_sub_f32_e32 v1, v37, v51
	v_mul_f32_e32 v0, v49, v0
	v_sub_f32_e32 v1, v50, v1
	v_add_f32_e32 v0, v1, v0
	v_add_f32_e32 v38, v37, v0
	v_mul_f32_e32 v44, v38, v38
	v_mov_b32_e32 v1, 0x3ecc95a3
	v_sub_f32_e32 v37, v38, v37
	v_fmac_f32_e32 v1, 0x3e9b6dac, v44
	v_sub_f32_e32 v0, v0, v37
	v_fmaak_f32 v1, v44, v1, 0x3f2aaada
	v_ldexp_f32 v45, v0, 1
	v_mul_f32_e32 v37, v38, v44
	v_mov_b32_e32 v0, 0x3f317218
	v_pk_mul_f32 v[0:1], v[36:37], v[0:1]
	v_ldexp_f32 v39, v38, 1
	v_fma_f32 v37, v36, s3, -v0
	v_fmamk_f32 v38, v36, 0xb102e308, v37
	v_pk_add_f32 v[36:37], v[0:1], v[38:39]
	v_mov_b32_e32 v44, v0
	v_sub_f32_e32 v39, v37, v39
	v_sub_f32_e32 v39, v1, v39
	v_add_f32_e32 v45, v45, v39
	v_pk_add_f32 v[0:1], v[36:37], v[0:1] neg_lo:[0,1] neg_hi:[0,1]
	v_pk_add_f32 v[46:47], v[36:37], v[44:45]
	v_mov_b32_e32 v39, v36
	v_mov_b32_e32 v1, v47
	v_pk_add_f32 v[48:49], v[38:39], v[0:1] neg_lo:[0,1] neg_hi:[0,1]
	v_pk_add_f32 v[0:1], v[38:39], v[0:1]
	v_mov_b32_e32 v44, v45
	v_pk_add_f32 v[38:39], v[0:1], v[36:37] op_sel:[1,0] op_sel_hi:[0,1] neg_lo:[0,1] neg_hi:[0,1]
	v_pk_add_f32 v[50:51], v[46:47], v[38:39] op_sel_hi:[1,0] neg_lo:[0,1] neg_hi:[0,1]
	v_mov_b32_e32 v46, v47
	v_mov_b32_e32 v47, v1
	v_pk_mov_b32 v[38:39], v[36:37], v[38:39] op_sel:[1,0]
	v_mov_b32_e32 v45, v36
	v_pk_add_f32 v[38:39], v[46:47], v[38:39] neg_lo:[0,1] neg_hi:[0,1]
	v_mov_b32_e32 v50, v48
	v_pk_add_f32 v[36:37], v[44:45], v[38:39] neg_lo:[0,1] neg_hi:[0,1]
	v_mov_b32_e32 v49, v1
	v_pk_add_f32 v[38:39], v[50:51], v[36:37]
	s_mov_b32 s3, 0x33800000
	v_pk_add_f32 v[44:45], v[38:39], v[38:39] op_sel:[0,1] op_sel_hi:[1,0]
	s_nop 0
	v_pk_add_f32 v[0:1], v[0:1], v[44:45] op_sel:[1,0] op_sel_hi:[0,1]
	v_mov_b32_e32 v39, v0
	v_pk_add_f32 v[46:47], v[38:39], v[48:49] neg_lo:[0,1] neg_hi:[0,1]
	v_mov_b32_e32 v37, v44
	v_sub_f32_e32 v1, v38, v46
	v_pk_add_f32 v[36:37], v[36:37], v[46:47] neg_lo:[0,1] neg_hi:[0,1]
	v_sub_f32_e32 v1, v48, v1
	v_add_f32_e32 v1, v36, v1
	v_add_f32_e32 v1, v1, v37
	;; [unrolled: 1-line block ×3, first 2 shown]
	v_cndmask_b32_e32 v0, v52, v0, vcc
	v_cmp_gt_f32_e32 vcc, s3, v53
	s_nop 1
	v_cndmask_b32_e32 v1, v0, v53, vcc
.LBB9_32:
	s_or_b64 exec, exec, s[4:5]
	v_lshl_add_u64 v[36:37], v[40:41], 0, s[12:13]
	v_mul_f32_e32 v14, v1, v14
	global_load_dword v0, v[36:37], off
	s_mov_b32 s4, 0x3fb8aa3b
	v_mul_f32_e32 v15, v1, v15
	v_mul_f32_e32 v36, 0x3fb8aa3b, v14
	;; [unrolled: 1-line block ×4, first 2 shown]
	v_fma_f32 v44, v14, s4, -v36
	v_rndne_f32_e32 v45, v36
	v_mul_f32_e32 v17, v1, v17
	v_mul_f32_e32 v38, 0x3fb8aa3b, v16
	v_fma_f32 v46, v15, s4, -v37
	v_rndne_f32_e32 v47, v37
	v_fmac_f32_e32 v44, 0x32a5705f, v14
	v_sub_f32_e32 v36, v36, v45
	v_mul_f32_e32 v10, v1, v10
	v_mul_f32_e32 v39, 0x3fb8aa3b, v17
	v_fma_f32 v49, v16, s4, -v38
	v_rndne_f32_e32 v50, v38
	v_fmac_f32_e32 v46, 0x32a5705f, v15
	v_sub_f32_e32 v37, v37, v47
	v_add_f32_e32 v36, v36, v44
	v_mul_f32_e32 v41, 0x3fb8aa3b, v10
	v_fma_f32 v51, v17, s4, -v39
	v_rndne_f32_e32 v52, v39
	v_cvt_i32_f32_e32 v45, v45
	v_fmac_f32_e32 v49, 0x32a5705f, v16
	v_sub_f32_e32 v38, v38, v50
	v_add_f32_e32 v37, v37, v46
	v_exp_f32_e32 v36, v36
	v_fma_f32 v53, v10, s4, -v41
	v_rndne_f32_e32 v54, v41
	v_cvt_i32_f32_e32 v47, v47
	v_fmac_f32_e32 v51, 0x32a5705f, v17
	v_sub_f32_e32 v39, v39, v52
	v_add_f32_e32 v38, v38, v49
	v_exp_f32_e32 v37, v37
	v_cvt_i32_f32_e32 v50, v50
	v_fmac_f32_e32 v53, 0x32a5705f, v10
	v_sub_f32_e32 v41, v41, v54
	v_add_f32_e32 v39, v39, v51
	v_exp_f32_e32 v38, v38
	s_mul_i32 s6, s21, s2
	s_mov_b32 s2, 0xc2ce8ed0
	v_cvt_i32_f32_e32 v52, v52
	v_add_f32_e32 v41, v41, v53
	v_exp_f32_e32 v39, v39
	v_cvt_i32_f32_e32 v54, v54
	v_exp_f32_e32 v41, v41
	v_ldexp_f32 v36, v36, v45
	v_cmp_ngt_f32_e32 vcc, s2, v14
	v_ldexp_f32 v37, v37, v47
	v_ldexp_f32 v38, v38, v50
	v_cndmask_b32_e32 v36, 0, v36, vcc
	v_cmp_ngt_f32_e32 vcc, s2, v15
	v_ldexp_f32 v39, v39, v52
	s_mov_b32 s3, 0x42b17218
	v_cndmask_b32_e32 v37, 0, v37, vcc
	v_cmp_ngt_f32_e32 vcc, s2, v16
	v_ldexp_f32 v41, v41, v54
	v_mov_b32_e32 v40, 0x7f800000
	v_cndmask_b32_e32 v38, 0, v38, vcc
	v_cmp_ngt_f32_e32 vcc, s2, v17
	v_mul_f32_e32 v11, v1, v11
	v_mul_f32_e32 v12, v1, v12
	v_cndmask_b32_e32 v39, 0, v39, vcc
	v_cmp_ngt_f32_e32 vcc, s2, v10
	v_mul_f32_e32 v6, v1, v6
	v_mul_f32_e32 v7, v1, v7
	v_cndmask_b32_e32 v41, 0, v41, vcc
	v_cmp_nlt_f32_e32 vcc, s3, v14
	v_mul_f32_e32 v14, 0x3fb8aa3b, v11
	v_mul_f32_e32 v8, v1, v8
	v_cndmask_b32_e32 v52, v40, v36, vcc
	v_cmp_nlt_f32_e32 vcc, s3, v15
	v_fma_f32 v15, v11, s4, -v14
	v_fmac_f32_e32 v15, 0x32a5705f, v11
	v_cndmask_b32_e32 v53, v40, v37, vcc
	v_cmp_nlt_f32_e32 vcc, s3, v16
	v_rndne_f32_e32 v16, v14
	v_sub_f32_e32 v14, v14, v16
	v_add_f32_e32 v14, v14, v15
	v_exp_f32_e32 v44, v14
	v_cvt_i32_f32_e32 v45, v16
	v_cndmask_b32_e32 v54, v40, v38, vcc
	v_cmp_nlt_f32_e32 vcc, s3, v17
	v_mul_f32_e32 v2, v1, v2
	v_mul_f32_e32 v3, v1, v3
	v_cndmask_b32_e32 v55, v40, v39, vcc
	v_cmp_nlt_f32_e32 vcc, s3, v10
	v_ldexp_f32 v10, v44, v45
	v_mul_f32_e32 v4, v1, v4
	v_cndmask_b32_e32 v56, v40, v41, vcc
	v_mul_f32_e32 v41, 0x3fb8aa3b, v12
	v_fma_f32 v44, v12, s4, -v41
	v_rndne_f32_e32 v45, v41
	v_fmac_f32_e32 v44, 0x32a5705f, v12
	v_sub_f32_e32 v41, v41, v45
	v_add_f32_e32 v41, v41, v44
	v_exp_f32_e32 v41, v41
	v_cvt_i32_f32_e32 v44, v45
	v_cmp_ngt_f32_e32 vcc, s2, v11
	s_waitcnt vmcnt(0)
	v_mul_f32_e32 v0, v1, v0
	v_mov_b32_e32 v48, 0
	v_cndmask_b32_e32 v10, 0, v10, vcc
	v_cmp_nlt_f32_e32 vcc, s3, v11
	v_mul_f32_e32 v11, v1, v13
	v_mul_f32_e32 v13, 0x3fb8aa3b, v11
	v_cndmask_b32_e32 v57, v40, v10, vcc
	v_ldexp_f32 v10, v41, v44
	v_fma_f32 v41, v11, s4, -v13
	v_rndne_f32_e32 v44, v13
	v_fmac_f32_e32 v41, 0x32a5705f, v11
	v_sub_f32_e32 v13, v13, v44
	v_add_f32_e32 v13, v13, v41
	v_exp_f32_e32 v13, v13
	v_cvt_i32_f32_e32 v41, v44
	v_cmp_ngt_f32_e32 vcc, s2, v12
	ds_read_b128 v[14:17], v48 offset:64
	ds_read_b128 v[36:39], v48 offset:80
	v_cndmask_b32_e32 v10, 0, v10, vcc
	v_cmp_nlt_f32_e32 vcc, s3, v12
	v_mul_f32_e32 v12, 0x3fb8aa3b, v6
	v_lshl_add_u64 v[68:69], v[42:43], 0, s[0:1]
	v_cndmask_b32_e32 v58, v40, v10, vcc
	v_ldexp_f32 v10, v13, v41
	v_fma_f32 v13, v6, s4, -v12
	v_rndne_f32_e32 v41, v12
	v_fmac_f32_e32 v13, 0x32a5705f, v6
	v_sub_f32_e32 v12, v12, v41
	v_add_f32_e32 v12, v12, v13
	v_exp_f32_e32 v12, v12
	v_cvt_i32_f32_e32 v13, v41
	v_cmp_ngt_f32_e32 vcc, s2, v11
	s_add_u32 s5, s18, s8
	s_addc_u32 s7, s19, s9
	v_cndmask_b32_e32 v10, 0, v10, vcc
	v_cmp_nlt_f32_e32 vcc, s3, v11
	v_mul_f32_e32 v11, 0x3fb8aa3b, v7
	s_add_u32 s5, s5, s6
	v_cndmask_b32_e32 v59, v40, v10, vcc
	v_ldexp_f32 v10, v12, v13
	v_fma_f32 v12, v7, s4, -v11
	v_rndne_f32_e32 v13, v11
	v_fmac_f32_e32 v12, 0x32a5705f, v7
	v_sub_f32_e32 v11, v11, v13
	v_add_f32_e32 v11, v11, v12
	v_exp_f32_e32 v11, v11
	v_cvt_i32_f32_e32 v12, v13
	v_cmp_ngt_f32_e32 vcc, s2, v6
	s_addc_u32 s6, s7, 0
	s_add_u32 s0, s5, s36
	v_cndmask_b32_e32 v10, 0, v10, vcc
	v_cmp_nlt_f32_e32 vcc, s3, v6
	v_ldexp_f32 v6, v11, v12
	s_addc_u32 s1, s6, s33
	v_cndmask_b32_e32 v60, v40, v10, vcc
	v_mul_f32_e32 v10, 0x3fb8aa3b, v8
	v_fma_f32 v11, v8, s4, -v10
	v_rndne_f32_e32 v12, v10
	v_fmac_f32_e32 v11, 0x32a5705f, v8
	v_sub_f32_e32 v10, v10, v12
	v_add_f32_e32 v10, v10, v11
	v_exp_f32_e32 v10, v10
	v_cvt_i32_f32_e32 v11, v12
	v_cmp_ngt_f32_e32 vcc, s2, v7
	v_lshl_add_u64 v[34:35], v[34:35], 2, s[0:1]
	s_nop 0
	v_cndmask_b32_e32 v6, 0, v6, vcc
	v_cmp_nlt_f32_e32 vcc, s3, v7
	v_mul_f32_e32 v7, v1, v9
	v_mul_f32_e32 v9, 0x3fb8aa3b, v7
	v_cndmask_b32_e32 v61, v40, v6, vcc
	v_ldexp_f32 v6, v10, v11
	v_fma_f32 v10, v7, s4, -v9
	v_rndne_f32_e32 v11, v9
	v_fmac_f32_e32 v10, 0x32a5705f, v7
	v_sub_f32_e32 v9, v9, v11
	v_add_f32_e32 v9, v9, v10
	v_exp_f32_e32 v9, v9
	v_cvt_i32_f32_e32 v10, v11
	v_cmp_ngt_f32_e32 vcc, s2, v8
	v_mul_f32_e32 v1, v1, v5
	s_nop 0
	v_cndmask_b32_e32 v6, 0, v6, vcc
	v_cmp_nlt_f32_e32 vcc, s3, v8
	v_mul_f32_e32 v8, 0x3fb8aa3b, v2
	s_nop 0
	v_cndmask_b32_e32 v62, v40, v6, vcc
	v_ldexp_f32 v6, v9, v10
	v_fma_f32 v9, v2, s4, -v8
	v_rndne_f32_e32 v10, v8
	v_fmac_f32_e32 v9, 0x32a5705f, v2
	v_sub_f32_e32 v8, v8, v10
	v_add_f32_e32 v8, v8, v9
	v_exp_f32_e32 v8, v8
	v_cvt_i32_f32_e32 v9, v10
	v_cmp_ngt_f32_e32 vcc, s2, v7
	s_nop 1
	v_cndmask_b32_e32 v6, 0, v6, vcc
	v_cmp_nlt_f32_e32 vcc, s3, v7
	v_mul_f32_e32 v7, 0x3fb8aa3b, v3
	s_nop 0
	v_cndmask_b32_e32 v63, v40, v6, vcc
	v_ldexp_f32 v6, v8, v9
	v_fma_f32 v8, v3, s4, -v7
	v_rndne_f32_e32 v9, v7
	v_fmac_f32_e32 v8, 0x32a5705f, v3
	v_sub_f32_e32 v7, v7, v9
	v_add_f32_e32 v7, v7, v8
	v_exp_f32_e32 v41, v7
	v_cvt_i32_f32_e32 v44, v9
	v_cmp_ngt_f32_e32 vcc, s2, v2
	s_nop 1
	v_cndmask_b32_e32 v6, 0, v6, vcc
	v_cmp_nlt_f32_e32 vcc, s3, v2
	v_ldexp_f32 v2, v41, v44
	v_mul_f32_e32 v41, 0x3fb8aa3b, v4
	v_fma_f32 v44, v4, s4, -v41
	v_rndne_f32_e32 v45, v41
	v_fmac_f32_e32 v44, 0x32a5705f, v4
	v_sub_f32_e32 v41, v41, v45
	v_add_f32_e32 v41, v41, v44
	v_exp_f32_e32 v41, v41
	v_cvt_i32_f32_e32 v44, v45
	v_cndmask_b32_e32 v64, v40, v6, vcc
	v_cmp_ngt_f32_e32 vcc, s2, v3
	ds_read_b128 v[6:9], v48 offset:96
	ds_read_b128 v[10:13], v48 offset:112
	v_cndmask_b32_e32 v2, 0, v2, vcc
	v_cmp_nlt_f32_e32 vcc, s3, v3
	v_mul_f32_e32 v3, 0x3fb8aa3b, v1
	v_fma_f32 v5, v1, s4, -v3
	v_cndmask_b32_e32 v65, v40, v2, vcc
	v_ldexp_f32 v2, v41, v44
	v_rndne_f32_e32 v41, v3
	v_fmac_f32_e32 v5, 0x32a5705f, v1
	v_sub_f32_e32 v3, v3, v41
	v_add_f32_e32 v3, v3, v5
	v_exp_f32_e32 v3, v3
	v_cvt_i32_f32_e32 v5, v41
	v_cmp_ngt_f32_e32 vcc, s2, v4
	s_nop 1
	v_cndmask_b32_e32 v2, 0, v2, vcc
	v_cmp_nlt_f32_e32 vcc, s3, v4
	s_nop 1
	v_cndmask_b32_e32 v66, v40, v2, vcc
	v_ldexp_f32 v2, v3, v5
	v_cmp_ngt_f32_e32 vcc, s2, v1
	s_nop 1
	v_cndmask_b32_e32 v2, 0, v2, vcc
	v_cmp_nlt_f32_e32 vcc, s3, v1
	s_nop 1
	v_cndmask_b32_e32 v67, v40, v2, vcc
	ds_read_b128 v[2:5], v48
	ds_read_b128 v[40:43], v48 offset:16
	ds_read_b128 v[44:47], v48 offset:32
	;; [unrolled: 1-line block ×3, first 2 shown]
	s_waitcnt lgkmcnt(3)
	v_pk_mul_f32 v[2:3], v[0:1], v[2:3] op_sel_hi:[0,1]
	v_pk_fma_f32 v[2:3], v[32:33], v[52:53], v[2:3]
	v_pk_mul_f32 v[4:5], v[0:1], v[4:5] op_sel_hi:[0,1]
	v_fma_f32 v32, v14, v2, 0
	v_fmac_f32_e32 v32, v15, v3
	v_pk_fma_f32 v[4:5], v[30:31], v[54:55], v[4:5]
	s_waitcnt lgkmcnt(2)
	v_pk_mul_f32 v[14:15], v[0:1], v[40:41] op_sel_hi:[0,1]
	v_fmac_f32_e32 v32, v16, v4
	v_fmac_f32_e32 v32, v17, v5
	v_pk_fma_f32 v[14:15], v[26:27], v[56:57], v[14:15]
	v_pk_mul_f32 v[16:17], v[0:1], v[42:43] op_sel_hi:[0,1]
	v_fmac_f32_e32 v32, v36, v14
	v_fmac_f32_e32 v32, v37, v15
	v_pk_fma_f32 v[16:17], v[28:29], v[58:59], v[16:17]
	s_waitcnt lgkmcnt(1)
	v_pk_mul_f32 v[26:27], v[0:1], v[44:45] op_sel_hi:[0,1]
	v_fmac_f32_e32 v32, v38, v16
	v_fmac_f32_e32 v32, v39, v17
	v_pk_fma_f32 v[22:23], v[22:23], v[60:61], v[26:27]
	s_nop 0
	v_fmac_f32_e32 v32, v6, v22
	v_fmac_f32_e32 v32, v7, v23
	v_pk_mul_f32 v[6:7], v[0:1], v[46:47] op_sel_hi:[0,1]
	v_pk_fma_f32 v[24:25], v[24:25], v[62:63], v[6:7]
	s_waitcnt lgkmcnt(0)
	v_pk_mul_f32 v[6:7], v[0:1], v[48:49] op_sel_hi:[0,1]
	v_fmac_f32_e32 v32, v8, v24
	v_fmac_f32_e32 v32, v9, v25
	v_pk_fma_f32 v[6:7], v[18:19], v[64:65], v[6:7]
	v_pk_mul_f32 v[0:1], v[0:1], v[50:51] op_sel_hi:[0,1]
	v_fmac_f32_e32 v32, v10, v6
	v_fmac_f32_e32 v32, v11, v7
	v_pk_fma_f32 v[8:9], v[20:21], v[66:67], v[0:1]
	s_nop 0
	v_fmac_f32_e32 v32, v12, v8
	v_fmac_f32_e32 v32, v13, v9
	global_store_dword v[68:69], v32, off
	s_barrier
	global_store_dwordx4 v[34:35], v[2:5], off
	global_store_dwordx4 v[34:35], v[14:17], off offset:16
	global_store_dwordx4 v[34:35], v[22:25], off offset:32
	;; [unrolled: 1-line block ×3, first 2 shown]
	s_endpgm
	.section	.rodata,"a",@progbits
	.p2align	6, 0x0
	.amdhsa_kernel _Z12ssm_scan_f32ILm128ELm16ELm8EEvPKfS1_S1_S1_S1_S1_PKiPfiiiiiiiiiiilll
		.amdhsa_group_segment_fixed_size 128
		.amdhsa_private_segment_fixed_size 0
		.amdhsa_kernarg_size 136
		.amdhsa_user_sgpr_count 2
		.amdhsa_user_sgpr_dispatch_ptr 0
		.amdhsa_user_sgpr_queue_ptr 0
		.amdhsa_user_sgpr_kernarg_segment_ptr 1
		.amdhsa_user_sgpr_dispatch_id 0
		.amdhsa_user_sgpr_kernarg_preload_length 0
		.amdhsa_user_sgpr_kernarg_preload_offset 0
		.amdhsa_user_sgpr_private_segment_size 0
		.amdhsa_uses_dynamic_stack 0
		.amdhsa_enable_private_segment 0
		.amdhsa_system_sgpr_workgroup_id_x 1
		.amdhsa_system_sgpr_workgroup_id_y 1
		.amdhsa_system_sgpr_workgroup_id_z 0
		.amdhsa_system_sgpr_workgroup_info 0
		.amdhsa_system_vgpr_workitem_id 0
		.amdhsa_next_free_vgpr 94
		.amdhsa_next_free_sgpr 37
		.amdhsa_accum_offset 96
		.amdhsa_reserve_vcc 1
		.amdhsa_float_round_mode_32 0
		.amdhsa_float_round_mode_16_64 0
		.amdhsa_float_denorm_mode_32 3
		.amdhsa_float_denorm_mode_16_64 3
		.amdhsa_dx10_clamp 1
		.amdhsa_ieee_mode 1
		.amdhsa_fp16_overflow 0
		.amdhsa_tg_split 0
		.amdhsa_exception_fp_ieee_invalid_op 0
		.amdhsa_exception_fp_denorm_src 0
		.amdhsa_exception_fp_ieee_div_zero 0
		.amdhsa_exception_fp_ieee_overflow 0
		.amdhsa_exception_fp_ieee_underflow 0
		.amdhsa_exception_fp_ieee_inexact 0
		.amdhsa_exception_int_div_zero 0
	.end_amdhsa_kernel
	.section	.text._Z12ssm_scan_f32ILm128ELm16ELm8EEvPKfS1_S1_S1_S1_S1_PKiPfiiiiiiiiiiilll,"axG",@progbits,_Z12ssm_scan_f32ILm128ELm16ELm8EEvPKfS1_S1_S1_S1_S1_PKiPfiiiiiiiiiiilll,comdat
.Lfunc_end9:
	.size	_Z12ssm_scan_f32ILm128ELm16ELm8EEvPKfS1_S1_S1_S1_S1_PKiPfiiiiiiiiiiilll, .Lfunc_end9-_Z12ssm_scan_f32ILm128ELm16ELm8EEvPKfS1_S1_S1_S1_S1_PKiPfiiiiiiiiiiilll
                                        ; -- End function
	.set _Z12ssm_scan_f32ILm128ELm16ELm8EEvPKfS1_S1_S1_S1_S1_PKiPfiiiiiiiiiiilll.num_vgpr, 94
	.set _Z12ssm_scan_f32ILm128ELm16ELm8EEvPKfS1_S1_S1_S1_S1_PKiPfiiiiiiiiiiilll.num_agpr, 0
	.set _Z12ssm_scan_f32ILm128ELm16ELm8EEvPKfS1_S1_S1_S1_S1_PKiPfiiiiiiiiiiilll.numbered_sgpr, 37
	.set _Z12ssm_scan_f32ILm128ELm16ELm8EEvPKfS1_S1_S1_S1_S1_PKiPfiiiiiiiiiiilll.num_named_barrier, 0
	.set _Z12ssm_scan_f32ILm128ELm16ELm8EEvPKfS1_S1_S1_S1_S1_PKiPfiiiiiiiiiiilll.private_seg_size, 0
	.set _Z12ssm_scan_f32ILm128ELm16ELm8EEvPKfS1_S1_S1_S1_S1_PKiPfiiiiiiiiiiilll.uses_vcc, 1
	.set _Z12ssm_scan_f32ILm128ELm16ELm8EEvPKfS1_S1_S1_S1_S1_PKiPfiiiiiiiiiiilll.uses_flat_scratch, 0
	.set _Z12ssm_scan_f32ILm128ELm16ELm8EEvPKfS1_S1_S1_S1_S1_PKiPfiiiiiiiiiiilll.has_dyn_sized_stack, 0
	.set _Z12ssm_scan_f32ILm128ELm16ELm8EEvPKfS1_S1_S1_S1_S1_PKiPfiiiiiiiiiiilll.has_recursion, 0
	.set _Z12ssm_scan_f32ILm128ELm16ELm8EEvPKfS1_S1_S1_S1_S1_PKiPfiiiiiiiiiiilll.has_indirect_call, 0
	.section	.AMDGPU.csdata,"",@progbits
; Kernel info:
; codeLenInByte = 22256
; TotalNumSgprs: 43
; NumVgprs: 94
; NumAgprs: 0
; TotalNumVgprs: 94
; ScratchSize: 0
; MemoryBound: 0
; FloatMode: 240
; IeeeMode: 1
; LDSByteSize: 128 bytes/workgroup (compile time only)
; SGPRBlocks: 5
; VGPRBlocks: 11
; NumSGPRsForWavesPerEU: 43
; NumVGPRsForWavesPerEU: 94
; AccumOffset: 96
; Occupancy: 5
; WaveLimiterHint : 1
; COMPUTE_PGM_RSRC2:SCRATCH_EN: 0
; COMPUTE_PGM_RSRC2:USER_SGPR: 2
; COMPUTE_PGM_RSRC2:TRAP_HANDLER: 0
; COMPUTE_PGM_RSRC2:TGID_X_EN: 1
; COMPUTE_PGM_RSRC2:TGID_Y_EN: 1
; COMPUTE_PGM_RSRC2:TGID_Z_EN: 0
; COMPUTE_PGM_RSRC2:TIDIG_COMP_CNT: 0
; COMPUTE_PGM_RSRC3_GFX90A:ACCUM_OFFSET: 23
; COMPUTE_PGM_RSRC3_GFX90A:TG_SPLIT: 0
	.section	.text._Z12ssm_scan_f32ILm128ELm16ELm0EEvPKfS1_S1_S1_S1_S1_PKiPfiiiiiiiiiiilll,"axG",@progbits,_Z12ssm_scan_f32ILm128ELm16ELm0EEvPKfS1_S1_S1_S1_S1_PKiPfiiiiiiiiiiilll,comdat
	.protected	_Z12ssm_scan_f32ILm128ELm16ELm0EEvPKfS1_S1_S1_S1_S1_PKiPfiiiiiiiiiiilll ; -- Begin function _Z12ssm_scan_f32ILm128ELm16ELm0EEvPKfS1_S1_S1_S1_S1_PKiPfiiiiiiiiiiilll
	.globl	_Z12ssm_scan_f32ILm128ELm16ELm0EEvPKfS1_S1_S1_S1_S1_PKiPfiiiiiiiiiiilll
	.p2align	8
	.type	_Z12ssm_scan_f32ILm128ELm16ELm0EEvPKfS1_S1_S1_S1_S1_PKiPfiiiiiiiiiiilll,@function
_Z12ssm_scan_f32ILm128ELm16ELm0EEvPKfS1_S1_S1_S1_S1_PKiPfiiiiiiiiiiilll: ; @_Z12ssm_scan_f32ILm128ELm16ELm0EEvPKfS1_S1_S1_S1_S1_PKiPfiiiiiiiiiiilll
; %bb.0:
	s_load_dwordx16 s[4:19], s[0:1], 0x0
	s_load_dwordx8 s[20:27], s[0:1], 0x40
	s_mov_b32 s34, s3
	s_mov_b32 s3, 0
	s_lshl_b64 s[28:29], s[2:3], 2
	s_waitcnt lgkmcnt(0)
	s_add_u32 s16, s16, s28
	s_addc_u32 s17, s17, s29
	s_load_dword s16, s[16:17], 0x0
	s_mov_b32 s35, s3
	v_mov_b32_e32 v43, 0
	s_waitcnt lgkmcnt(0)
	s_mul_i32 s16, s16, s21
	s_ashr_i32 s3, s16, 31
	s_add_u32 s16, s4, s16
	s_addc_u32 s17, s5, s3
	s_lshl_b64 s[4:5], s[34:35], 7
	s_ashr_i32 s3, s20, 31
	s_mul_i32 s3, s4, s3
	s_mul_hi_u32 s28, s4, s20
	s_add_i32 s3, s28, s3
	s_lshr_b32 s28, s34, 25
	s_mul_i32 s28, s28, s20
	s_add_i32 s3, s3, s28
	s_mul_i32 s33, s4, s20
	s_add_u32 s16, s16, s33
	s_addc_u32 s17, s17, s3
	s_ashr_i32 s20, s20, 2
	v_mul_lo_u32 v42, s20, v0
	v_lshl_add_u64 v[18:19], v[42:43], 2, s[16:17]
	global_load_dwordx4 v[14:17], v[18:19], off
	global_load_dwordx4 v[10:13], v[18:19], off offset:16
	global_load_dwordx4 v[6:9], v[18:19], off offset:32
	;; [unrolled: 1-line block ×3, first 2 shown]
	s_load_dwordx2 s[16:17], s[0:1], 0x80
	s_load_dwordx4 s[28:31], s[0:1], 0x70
	s_waitcnt lgkmcnt(0)
	s_cmp_eq_u64 s[16:17], 0
	s_cbranch_scc1 .LBB10_7
; %bb.1:
	s_ashr_i32 s20, s26, 31
	s_mul_hi_u32 s36, s4, s26
	s_mul_i32 s20, s4, s20
	s_add_i32 s20, s36, s20
	s_mul_i32 s5, s5, s26
	s_add_i32 s20, s20, s5
	s_mul_i32 s4, s4, s26
	s_add_u32 s4, s10, s4
	s_addc_u32 s5, s11, s20
	s_ashr_i32 s10, s26, 2
	v_mul_lo_u32 v18, s10, v0
	v_mov_b32_e32 v19, v43
	v_lshl_add_u64 v[34:35], v[18:19], 2, s[4:5]
	global_load_dwordx4 v[18:21], v[34:35], off
	global_load_dwordx4 v[22:25], v[34:35], off offset:16
	global_load_dwordx4 v[26:29], v[34:35], off offset:32
	;; [unrolled: 1-line block ×3, first 2 shown]
	s_load_dwordx4 s[36:39], s[0:1], 0x60
	s_mul_i32 s1, s2, s31
	s_mul_hi_u32 s5, s2, s30
	s_add_i32 s1, s5, s1
	s_mul_i32 s5, s2, s30
	s_mul_i32 s10, s5, s17
	s_mul_hi_u32 s11, s5, s16
	s_mul_i32 s1, s1, s16
	s_add_i32 s10, s11, s10
	s_add_i32 s11, s10, s1
	s_mul_i32 s10, s5, s16
	s_waitcnt lgkmcnt(0)
	s_ashr_i32 s0, s37, 2
	s_ashr_i32 s4, s24, 2
	s_lshl_b64 s[10:11], s[10:11], 2
	s_add_u32 s1, s18, s10
	s_addc_u32 s5, s19, s11
	s_lshl_b64 s[10:11], s[34:35], 9
	s_add_u32 s34, s1, s10
	s_addc_u32 s35, s5, s11
	s_mul_i32 s1, s38, s2
	s_add_u32 s14, s14, s1
	s_addc_u32 s15, s15, 0
	s_mul_i32 s1, s36, s2
	;; [unrolled: 3-line block ×3, first 2 shown]
	s_add_u32 s1, s8, s1
	s_addc_u32 s5, s9, 0
	s_add_u32 s8, s1, s10
	s_addc_u32 s9, s5, s11
	s_mul_i32 s1, s23, s2
	s_add_u32 s1, s6, s1
	s_addc_u32 s5, s7, 0
	s_add_u32 s6, s1, s10
	s_addc_u32 s7, s5, s11
	s_ashr_i32 s24, s27, 2
	s_ashr_i32 s10, s22, 2
	v_cmp_gt_u32_e32 vcc, 16, v0
	v_lshlrev_b32_e32 v0, 2, v0
	v_mov_b32_e32 v1, v43
	s_ashr_i32 s25, s24, 31
	s_ashr_i32 s1, s0, 31
	;; [unrolled: 1-line block ×4, first 2 shown]
	v_lshl_add_u64 v[50:51], s[6:7], 0, v[0:1]
	s_bfe_i64 s[6:7], s[30:31], 0x200000
	v_lshl_add_u64 v[44:45], s[12:13], 0, v[0:1]
	v_lshl_add_u64 v[46:47], s[14:15], 0, v[0:1]
	;; [unrolled: 1-line block ×4, first 2 shown]
	s_lshl_b64 s[8:9], s[6:7], 2
	s_lshl_b64 s[10:11], s[10:11], 2
	;; [unrolled: 1-line block ×5, first 2 shown]
	s_mov_b32 s20, 0x41a00000
	s_mov_b32 s24, 0x3fb8aa3b
	s_mov_b32 s25, 0xc2ce8ed0
	s_mov_b32 s26, 0x42b17218
	s_mov_b32 s27, 0x7f800000
	s_mov_b32 s30, 0x3f2aaaab
	v_mov_b32_e32 v1, 0x3ecc95a3
	s_mov_b32 s31, 0x3f317218
	s_mov_b32 s34, 0x33800000
	v_mov_b32_e32 v57, 0x7f800000
	v_mov_b32_e32 v54, 0x3f317218
                                        ; implicit-def: $vgpr34
	s_branch .LBB10_3
.LBB10_2:                               ;   in Loop: Header=BB10_3 Depth=1
	s_or_b64 exec, exec, s[4:5]
	global_load_dword v56, v[50:51], off
	v_mul_f32_e32 v58, v55, v18
	v_mul_f32_e32 v59, 0x3fb8aa3b, v58
	v_fma_f32 v60, v58, s24, -v59
	v_rndne_f32_e32 v61, v59
	v_fmac_f32_e32 v60, 0x32a5705f, v58
	v_sub_f32_e32 v59, v59, v61
	v_add_f32_e32 v59, v59, v60
	v_mul_f32_e32 v60, v55, v19
	v_mul_f32_e32 v62, 0x3fb8aa3b, v60
	v_cvt_i32_f32_e32 v61, v61
	v_exp_f32_e32 v59, v59
	v_fma_f32 v63, v60, s24, -v62
	v_rndne_f32_e32 v64, v62
	v_fmac_f32_e32 v63, 0x32a5705f, v60
	v_sub_f32_e32 v62, v62, v64
	v_add_f32_e32 v62, v62, v63
	v_mul_f32_e32 v63, v55, v20
	v_mul_f32_e32 v65, 0x3fb8aa3b, v63
	v_ldexp_f32 v59, v59, v61
	v_cvt_i32_f32_e32 v61, v64
	v_exp_f32_e32 v62, v62
	v_fma_f32 v66, v63, s24, -v65
	v_rndne_f32_e32 v67, v65
	v_fmac_f32_e32 v66, 0x32a5705f, v63
	v_sub_f32_e32 v65, v65, v67
	v_add_f32_e32 v65, v65, v66
	v_mul_f32_e32 v66, v55, v21
	v_mul_f32_e32 v68, 0x3fb8aa3b, v66
	v_ldexp_f32 v61, v62, v61
	v_cvt_i32_f32_e32 v62, v67
	v_exp_f32_e32 v64, v65
	v_fma_f32 v69, v66, s24, -v68
	v_rndne_f32_e32 v70, v68
	v_fmac_f32_e32 v69, 0x32a5705f, v66
	v_sub_f32_e32 v68, v68, v70
	v_add_f32_e32 v68, v68, v69
	ds_read_b128 v[38:41], v43
	ds_read_b128 v[34:37], v43 offset:16
	v_ldexp_f32 v62, v64, v62
	v_cvt_i32_f32_e32 v64, v70
	v_exp_f32_e32 v65, v68
	v_cmp_ngt_f32_e64 s[0:1], s25, v60
	v_cmp_ngt_f32_e64 s[6:7], s25, v58
	;; [unrolled: 1-line block ×3, first 2 shown]
	v_cndmask_b32_e64 v61, 0, v61, s[0:1]
	v_cmp_nlt_f32_e64 s[0:1], s26, v60
	v_cndmask_b32_e64 v59, 0, v59, s[6:7]
	v_cmp_nlt_f32_e64 s[6:7], s26, v58
	v_ldexp_f32 v64, v65, v64
	v_cndmask_b32_e64 v60, 0, v64, s[4:5]
	v_cndmask_b32_e64 v58, v57, v59, s[6:7]
	;; [unrolled: 1-line block ×3, first 2 shown]
	v_cmp_ngt_f32_e64 s[0:1], s25, v63
	v_cmp_nlt_f32_e64 s[4:5], s26, v66
	s_add_u32 s16, s16, -1
	v_cndmask_b32_e64 v61, 0, v62, s[0:1]
	v_cmp_nlt_f32_e64 s[0:1], s26, v63
	v_cndmask_b32_e64 v63, v57, v60, s[4:5]
	s_addc_u32 s17, s17, -1
	v_cndmask_b32_e64 v62, v57, v61, s[0:1]
	v_lshl_add_u64 v[50:51], v[50:51], 0, s[10:11]
	v_lshl_add_u64 v[48:49], v[48:49], 0, s[12:13]
	;; [unrolled: 1-line block ×3, first 2 shown]
	s_cmp_eq_u64 s[16:17], 0
	v_lshl_add_u64 v[44:45], v[44:45], 0, s[22:23]
	s_waitcnt vmcnt(0)
	v_mul_f32_e32 v56, v55, v56
	s_waitcnt lgkmcnt(1)
	v_pk_mul_f32 v[38:39], v[56:57], v[38:39] op_sel_hi:[0,1]
	v_pk_fma_f32 v[14:15], v[14:15], v[58:59], v[38:39]
	ds_read_b128 v[58:61], v43 offset:64
	v_pk_mul_f32 v[40:41], v[56:57], v[40:41] op_sel_hi:[0,1]
	v_pk_fma_f32 v[16:17], v[16:17], v[62:63], v[40:41]
	ds_read_b128 v[38:41], v43 offset:80
	s_waitcnt lgkmcnt(2)
	v_pk_mul_f32 v[34:35], v[56:57], v[34:35] op_sel_hi:[0,1]
	s_waitcnt lgkmcnt(1)
	v_fma_f32 v64, v58, v14, 0
	v_fmac_f32_e32 v64, v59, v15
	v_mul_f32_e32 v58, v55, v22
	v_fmac_f32_e32 v64, v60, v16
	v_mul_f32_e32 v59, 0x3fb8aa3b, v58
	v_fmac_f32_e32 v64, v61, v17
	v_fma_f32 v60, v58, s24, -v59
	v_rndne_f32_e32 v61, v59
	v_fmac_f32_e32 v60, 0x32a5705f, v58
	v_sub_f32_e32 v59, v59, v61
	v_add_f32_e32 v59, v59, v60
	v_mul_f32_e32 v60, v55, v23
	v_mul_f32_e32 v62, 0x3fb8aa3b, v60
	v_cvt_i32_f32_e32 v61, v61
	v_exp_f32_e32 v59, v59
	v_fma_f32 v63, v60, s24, -v62
	v_rndne_f32_e32 v65, v62
	v_fmac_f32_e32 v63, 0x32a5705f, v60
	v_sub_f32_e32 v62, v62, v65
	v_add_f32_e32 v62, v62, v63
	v_ldexp_f32 v59, v59, v61
	v_cvt_i32_f32_e32 v61, v65
	v_exp_f32_e32 v62, v62
	v_cmp_ngt_f32_e64 s[0:1], s25, v60
	v_cmp_ngt_f32_e64 s[4:5], s25, v58
	v_pk_mul_f32 v[36:37], v[56:57], v[36:37] op_sel_hi:[0,1]
	v_ldexp_f32 v61, v62, v61
	v_cndmask_b32_e64 v61, 0, v61, s[0:1]
	v_cmp_nlt_f32_e64 s[0:1], s26, v60
	v_cndmask_b32_e64 v59, 0, v59, s[4:5]
	v_cmp_nlt_f32_e64 s[4:5], s26, v58
	s_nop 1
	v_cndmask_b32_e64 v58, v57, v59, s[4:5]
	v_cndmask_b32_e64 v59, v57, v61, s[0:1]
	v_pk_fma_f32 v[10:11], v[10:11], v[58:59], v[34:35]
	v_mul_f32_e32 v34, v55, v24
	v_mul_f32_e32 v35, 0x3fb8aa3b, v34
	v_fma_f32 v58, v34, s24, -v35
	v_rndne_f32_e32 v59, v35
	v_fmac_f32_e32 v58, 0x32a5705f, v34
	v_sub_f32_e32 v35, v35, v59
	v_add_f32_e32 v35, v35, v58
	v_mul_f32_e32 v58, v55, v25
	v_mul_f32_e32 v60, 0x3fb8aa3b, v58
	v_exp_f32_e32 v35, v35
	v_cvt_i32_f32_e32 v59, v59
	v_fma_f32 v61, v58, s24, -v60
	v_rndne_f32_e32 v62, v60
	v_fmac_f32_e32 v61, 0x32a5705f, v58
	v_sub_f32_e32 v60, v60, v62
	v_add_f32_e32 v60, v60, v61
	v_ldexp_f32 v35, v35, v59
	v_exp_f32_e32 v59, v60
	v_cvt_i32_f32_e32 v60, v62
	v_cmp_ngt_f32_e64 s[0:1], s25, v58
	v_cmp_ngt_f32_e64 s[4:5], s25, v34
	v_ldexp_f32 v59, v59, v60
	v_cndmask_b32_e64 v59, 0, v59, s[0:1]
	v_cmp_nlt_f32_e64 s[0:1], s26, v58
	v_cndmask_b32_e64 v35, 0, v35, s[4:5]
	v_cmp_nlt_f32_e64 s[4:5], s26, v34
	v_mul_f32_e32 v58, v55, v26
	s_nop 0
	v_cndmask_b32_e64 v34, v57, v35, s[4:5]
	v_cndmask_b32_e64 v35, v57, v59, s[0:1]
	v_pk_fma_f32 v[12:13], v[12:13], v[34:35], v[36:37]
	v_mul_f32_e32 v34, v55, v27
	v_mul_f32_e32 v35, 0x3fb8aa3b, v34
	;; [unrolled: 1-line block ×3, first 2 shown]
	v_fma_f32 v36, v34, s24, -v35
	v_rndne_f32_e32 v37, v35
	v_fma_f32 v60, v58, s24, -v59
	v_rndne_f32_e32 v61, v59
	v_fmac_f32_e32 v36, 0x32a5705f, v34
	v_sub_f32_e32 v35, v35, v37
	v_fmac_f32_e32 v60, 0x32a5705f, v58
	v_sub_f32_e32 v59, v59, v61
	v_add_f32_e32 v35, v35, v36
	v_add_f32_e32 v59, v59, v60
	v_exp_f32_e32 v35, v35
	v_cvt_i32_f32_e32 v37, v37
	v_exp_f32_e32 v36, v59
	v_cvt_i32_f32_e32 v59, v61
	v_cmp_ngt_f32_e64 s[0:1], s25, v34
	v_ldexp_f32 v35, v35, v37
	v_cmp_ngt_f32_e64 s[4:5], s25, v58
	v_ldexp_f32 v59, v36, v59
	v_cndmask_b32_e64 v60, 0, v35, s[0:1]
	v_cmp_nlt_f32_e64 s[0:1], s26, v34
	ds_read_b128 v[34:37], v43 offset:32
	v_cndmask_b32_e64 v59, 0, v59, s[4:5]
	v_cmp_nlt_f32_e64 s[4:5], s26, v58
	v_cndmask_b32_e64 v63, v57, v60, s[0:1]
	s_nop 0
	v_cndmask_b32_e64 v62, v57, v59, s[4:5]
	ds_read_b128 v[58:61], v43 offset:48
	s_waitcnt lgkmcnt(1)
	v_pk_mul_f32 v[34:35], v[56:57], v[34:35] op_sel_hi:[0,1]
	v_pk_fma_f32 v[6:7], v[6:7], v[62:63], v[34:35]
	v_pk_mul_f32 v[34:35], v[56:57], v[36:37] op_sel_hi:[0,1]
	v_mul_f32_e32 v36, v55, v28
	v_mul_f32_e32 v37, 0x3fb8aa3b, v36
	v_fma_f32 v62, v36, s24, -v37
	v_rndne_f32_e32 v63, v37
	v_fmac_f32_e32 v62, 0x32a5705f, v36
	v_sub_f32_e32 v37, v37, v63
	v_add_f32_e32 v37, v37, v62
	v_mul_f32_e32 v62, v55, v29
	v_mul_f32_e32 v65, 0x3fb8aa3b, v62
	v_exp_f32_e32 v37, v37
	v_cvt_i32_f32_e32 v63, v63
	v_fma_f32 v66, v62, s24, -v65
	v_rndne_f32_e32 v67, v65
	v_fmac_f32_e32 v66, 0x32a5705f, v62
	v_sub_f32_e32 v65, v65, v67
	v_add_f32_e32 v65, v65, v66
	v_ldexp_f32 v37, v37, v63
	v_exp_f32_e32 v63, v65
	v_cvt_i32_f32_e32 v65, v67
	v_cmp_ngt_f32_e64 s[0:1], s25, v62
	v_cmp_ngt_f32_e64 s[4:5], s25, v36
	v_ldexp_f32 v63, v63, v65
	v_cndmask_b32_e64 v63, 0, v63, s[0:1]
	v_cmp_nlt_f32_e64 s[0:1], s26, v62
	v_cndmask_b32_e64 v37, 0, v37, s[4:5]
	v_cmp_nlt_f32_e64 s[4:5], s26, v36
	s_nop 1
	v_cndmask_b32_e64 v36, v57, v37, s[4:5]
	v_cndmask_b32_e64 v37, v57, v63, s[0:1]
	v_pk_fma_f32 v[8:9], v[8:9], v[36:37], v[34:35]
	v_mul_f32_e32 v34, v55, v30
	v_mul_f32_e32 v35, 0x3fb8aa3b, v34
	v_fma_f32 v36, v34, s24, -v35
	v_rndne_f32_e32 v37, v35
	v_fmac_f32_e32 v36, 0x32a5705f, v34
	v_sub_f32_e32 v35, v35, v37
	v_add_f32_e32 v35, v35, v36
	v_mul_f32_e32 v36, v55, v31
	v_mul_f32_e32 v62, 0x3fb8aa3b, v36
	v_exp_f32_e32 v35, v35
	v_cvt_i32_f32_e32 v37, v37
	v_fma_f32 v63, v36, s24, -v62
	v_rndne_f32_e32 v65, v62
	v_fmac_f32_e32 v63, 0x32a5705f, v36
	v_sub_f32_e32 v62, v62, v65
	v_add_f32_e32 v62, v62, v63
	v_ldexp_f32 v35, v35, v37
	v_exp_f32_e32 v37, v62
	v_cvt_i32_f32_e32 v62, v65
	v_cmp_ngt_f32_e64 s[0:1], s25, v36
	v_cmp_ngt_f32_e64 s[4:5], s25, v34
	v_ldexp_f32 v37, v37, v62
	v_cndmask_b32_e64 v37, 0, v37, s[0:1]
	v_cmp_nlt_f32_e64 s[0:1], s26, v36
	v_cndmask_b32_e64 v35, 0, v35, s[4:5]
	v_cmp_nlt_f32_e64 s[4:5], s26, v34
	s_nop 1
	v_cndmask_b32_e64 v34, v57, v35, s[4:5]
	v_cndmask_b32_e64 v35, v57, v37, s[0:1]
	s_waitcnt lgkmcnt(0)
	v_pk_mul_f32 v[36:37], v[56:57], v[58:59] op_sel_hi:[0,1]
	v_pk_fma_f32 v[2:3], v[2:3], v[34:35], v[36:37]
	v_pk_mul_f32 v[34:35], v[38:39], v[10:11]
	v_pk_mul_f32 v[38:39], v[40:41], v[12:13]
	v_add_f32_e32 v34, v64, v34
	v_add_f32_e32 v58, v34, v35
	ds_read_b128 v[34:37], v43 offset:96
	v_add_f32_e32 v38, v58, v38
	v_add_f32_e32 v58, v38, v39
	ds_read_b128 v[38:41], v43 offset:112
	s_waitcnt lgkmcnt(1)
	v_pk_mul_f32 v[34:35], v[34:35], v[6:7]
	s_nop 0
	v_add_f32_e32 v34, v58, v34
	v_add_f32_e32 v58, v34, v35
	v_pk_mul_f32 v[34:35], v[36:37], v[8:9]
	v_mul_f32_e32 v37, v55, v32
	v_add_f32_e32 v34, v58, v34
	v_add_f32_e32 v36, v34, v35
	s_waitcnt lgkmcnt(0)
	v_pk_mul_f32 v[34:35], v[38:39], v[2:3]
	v_cmp_ngt_f32_e64 s[0:1], s25, v37
	v_add_f32_e32 v34, v36, v34
	v_add_f32_e32 v38, v34, v35
	v_mul_f32_e32 v34, 0x3fb8aa3b, v37
	v_fma_f32 v35, v37, s24, -v34
	v_rndne_f32_e32 v36, v34
	v_fmac_f32_e32 v35, 0x32a5705f, v37
	v_sub_f32_e32 v34, v34, v36
	v_add_f32_e32 v34, v34, v35
	v_exp_f32_e32 v34, v34
	v_cvt_i32_f32_e32 v35, v36
	v_ldexp_f32 v34, v34, v35
	v_mul_f32_e32 v35, v55, v33
	v_mul_f32_e32 v36, 0x3fb8aa3b, v35
	v_fma_f32 v39, v35, s24, -v36
	v_rndne_f32_e32 v55, v36
	v_fmac_f32_e32 v39, 0x32a5705f, v35
	v_sub_f32_e32 v36, v36, v55
	v_add_f32_e32 v36, v36, v39
	v_cndmask_b32_e64 v34, 0, v34, s[0:1]
	v_cmp_nlt_f32_e64 s[0:1], s26, v37
	v_exp_f32_e32 v36, v36
	v_cvt_i32_f32_e32 v37, v55
	v_cndmask_b32_e64 v39, v57, v34, s[0:1]
	v_cmp_ngt_f32_e64 s[0:1], s25, v35
	v_mul_f32_e32 v4, v4, v39
	v_ldexp_f32 v34, v36, v37
	v_cndmask_b32_e64 v36, 0, v34, s[0:1]
	v_cmp_nlt_f32_e64 s[0:1], s26, v35
	v_mul_f32_e32 v34, v56, v60
	v_mov_b32_e32 v37, v56
	v_cndmask_b32_e64 v60, v57, v36, s[0:1]
	v_mov_b32_e32 v36, v5
	v_pk_mul_f32 v[36:37], v[36:37], v[60:61]
	s_nop 0
	v_mov_b32_e32 v5, v36
	v_mov_b32_e32 v35, v37
	v_pk_add_f32 v[4:5], v[4:5], v[34:35]
	s_nop 0
	v_pk_mul_f32 v[34:35], v[40:41], v[4:5]
	s_nop 0
	v_add_f32_e32 v34, v38, v34
	v_add_f32_e32 v34, v34, v35
	global_store_dword v[52:53], v34, off
	v_lshl_add_u64 v[52:53], v[52:53], 0, s[8:9]
	s_barrier
	s_cbranch_scc1 .LBB10_7
.LBB10_3:                               ; =>This Inner Loop Header: Depth=1
	s_and_saveexec_b64 s[0:1], vcc
	s_cbranch_execz .LBB10_5
; %bb.4:                                ;   in Loop: Header=BB10_3 Depth=1
	global_load_dword v34, v[44:45], off
	global_load_dword v35, v[46:47], off
	v_add_u32_e32 v36, 64, v0
	s_waitcnt vmcnt(1)
	ds_write_b32 v0, v34
	s_waitcnt vmcnt(0)
	ds_write_b32 v36, v35
.LBB10_5:                               ;   in Loop: Header=BB10_3 Depth=1
	s_or_b64 exec, exec, s[0:1]
	s_waitcnt lgkmcnt(0)
	s_barrier
	global_load_dword v55, v[48:49], off
	s_waitcnt vmcnt(0)
	v_cmp_ge_f32_e64 s[0:1], s20, v55
	s_and_saveexec_b64 s[4:5], s[0:1]
	s_cbranch_execz .LBB10_2
; %bb.6:                                ;   in Loop: Header=BB10_3 Depth=1
	v_mul_f32_e32 v34, 0x3fb8aa3b, v55
	v_rndne_f32_e32 v35, v34
	v_sub_f32_e32 v36, v34, v35
	v_fma_f32 v34, v55, s24, -v34
	v_fmac_f32_e32 v34, 0x32a5705f, v55
	v_add_f32_e32 v34, v36, v34
	v_cvt_i32_f32_e32 v35, v35
	v_exp_f32_e32 v34, v34
	v_cmp_ngt_f32_e64 s[0:1], s25, v55
	v_ldexp_f32 v34, v34, v35
	s_nop 0
	v_cndmask_b32_e64 v34, 0, v34, s[0:1]
	v_cmp_nlt_f32_e64 s[0:1], s26, v55
	s_nop 1
	v_cndmask_b32_e64 v56, v57, v34, s[0:1]
	v_add_f32_e32 v36, 1.0, v56
	v_add_f32_e32 v34, -1.0, v36
	v_sub_f32_e32 v35, v34, v36
	v_add_f32_e32 v35, 1.0, v35
	v_sub_f32_e32 v34, v56, v34
	v_add_f32_e32 v37, v34, v35
	v_frexp_mant_f32_e32 v38, v36
	v_cvt_f64_f32_e32 v[34:35], v36
	v_frexp_exp_i32_f64_e32 v34, v[34:35]
	v_cmp_gt_f32_e64 s[0:1], s30, v38
	s_nop 1
	v_subbrev_co_u32_e64 v58, s[0:1], 0, v34, s[0:1]
	v_sub_u32_e32 v34, 0, v58
	v_ldexp_f32 v35, v36, v34
	v_add_f32_e32 v36, -1.0, v35
	v_add_f32_e32 v38, 1.0, v35
	v_ldexp_f32 v34, v37, v34
	v_add_f32_e32 v37, 1.0, v36
	v_add_f32_e32 v39, -1.0, v38
	v_sub_f32_e32 v37, v35, v37
	v_sub_f32_e32 v35, v35, v39
	v_add_f32_e32 v37, v34, v37
	v_add_f32_e32 v34, v34, v35
	;; [unrolled: 1-line block ×3, first 2 shown]
	v_rcp_f32_e32 v60, v55
	v_sub_f32_e32 v35, v38, v55
	v_add_f32_e32 v59, v34, v35
	v_add_f32_e32 v35, v36, v37
	v_mul_f32_e32 v62, v35, v60
	v_sub_f32_e32 v34, v36, v35
	v_mul_f32_e32 v36, v55, v62
	v_fma_f32 v38, v62, v55, -v36
	v_fmac_f32_e32 v38, v62, v59
	v_add_f32_e32 v61, v37, v34
	v_add_f32_e32 v34, v36, v38
	v_sub_f32_e32 v37, v35, v34
	v_pk_add_f32 v[40:41], v[34:35], v[36:37] neg_lo:[0,1] neg_hi:[0,1]
	v_mov_b32_e32 v39, v34
	v_pk_add_f32 v[34:35], v[40:41], v[38:39] neg_lo:[0,1] neg_hi:[0,1]
	v_cmp_neq_f32_e64 s[0:1], s27, v56
	v_add_f32_e32 v35, v61, v35
	v_add_f32_e32 v34, v34, v35
	;; [unrolled: 1-line block ×3, first 2 shown]
	v_mul_f32_e32 v61, v60, v35
	v_mul_f32_e32 v36, v55, v61
	v_fma_f32 v38, v61, v55, -v36
	v_fmac_f32_e32 v38, v61, v59
	v_sub_f32_e32 v37, v37, v35
	v_add_f32_e32 v55, v34, v37
	v_add_f32_e32 v34, v36, v38
	v_sub_f32_e32 v37, v35, v34
	v_pk_add_f32 v[40:41], v[34:35], v[36:37] neg_lo:[0,1] neg_hi:[0,1]
	v_mov_b32_e32 v39, v34
	v_pk_add_f32 v[34:35], v[40:41], v[38:39] neg_lo:[0,1] neg_hi:[0,1]
	s_nop 0
	v_add_f32_e32 v35, v55, v35
	v_add_f32_e32 v34, v34, v35
	;; [unrolled: 1-line block ×4, first 2 shown]
	v_sub_f32_e32 v36, v35, v62
	v_mul_f32_e32 v34, v60, v34
	v_sub_f32_e32 v36, v61, v36
	v_add_f32_e32 v36, v36, v34
	v_add_f32_e32 v38, v35, v36
	v_mul_f32_e32 v39, v38, v38
	v_fmamk_f32 v34, v39, 0x3e9b6dac, v1
	v_fmaak_f32 v55, v39, v34, 0x3f2aaada
	v_cvt_f32_i32_e32 v34, v58
	v_sub_f32_e32 v35, v38, v35
	v_sub_f32_e32 v35, v36, v35
	v_ldexp_f32 v40, v35, 1
	v_mul_f32_e32 v35, v38, v39
	v_ldexp_f32 v37, v38, 1
	v_pk_mul_f32 v[38:39], v[34:35], v[54:55]
	s_nop 0
	v_fma_f32 v36, v34, s31, -v38
	v_fmac_f32_e32 v36, 0xb102e308, v34
	v_pk_add_f32 v[34:35], v[38:39], v[36:37]
	s_nop 0
	v_sub_f32_e32 v37, v35, v37
	v_sub_f32_e32 v37, v39, v37
	v_add_f32_e32 v41, v40, v37
	v_mov_b32_e32 v40, v38
	v_pk_add_f32 v[38:39], v[34:35], v[38:39] neg_lo:[0,1] neg_hi:[0,1]
	v_pk_add_f32 v[58:59], v[34:35], v[40:41]
	v_mov_b32_e32 v37, v34
	v_mov_b32_e32 v39, v59
	v_pk_add_f32 v[60:61], v[36:37], v[38:39] neg_lo:[0,1] neg_hi:[0,1]
	v_pk_add_f32 v[36:37], v[36:37], v[38:39]
	v_mov_b32_e32 v40, v41
	v_pk_add_f32 v[38:39], v[36:37], v[34:35] op_sel:[1,0] op_sel_hi:[0,1] neg_lo:[0,1] neg_hi:[0,1]
	v_pk_add_f32 v[62:63], v[58:59], v[38:39] op_sel_hi:[1,0] neg_lo:[0,1] neg_hi:[0,1]
	v_mov_b32_e32 v58, v59
	v_mov_b32_e32 v59, v37
	v_pk_mov_b32 v[38:39], v[34:35], v[38:39] op_sel:[1,0]
	v_mov_b32_e32 v41, v34
	v_pk_add_f32 v[38:39], v[58:59], v[38:39] neg_lo:[0,1] neg_hi:[0,1]
	v_mov_b32_e32 v62, v60
	v_pk_add_f32 v[34:35], v[40:41], v[38:39] neg_lo:[0,1] neg_hi:[0,1]
	v_mov_b32_e32 v61, v37
	v_pk_add_f32 v[38:39], v[62:63], v[34:35]
	s_nop 0
	v_pk_add_f32 v[40:41], v[38:39], v[38:39] op_sel:[0,1] op_sel_hi:[1,0]
	s_nop 0
	v_pk_add_f32 v[36:37], v[36:37], v[40:41] op_sel:[1,0] op_sel_hi:[0,1]
	v_mov_b32_e32 v39, v36
	v_pk_add_f32 v[58:59], v[38:39], v[60:61] neg_lo:[0,1] neg_hi:[0,1]
	v_mov_b32_e32 v35, v40
	v_sub_f32_e32 v37, v38, v58
	v_pk_add_f32 v[34:35], v[34:35], v[58:59] neg_lo:[0,1] neg_hi:[0,1]
	v_sub_f32_e32 v37, v60, v37
	v_add_f32_e32 v34, v34, v37
	v_add_f32_e32 v34, v34, v35
	;; [unrolled: 1-line block ×3, first 2 shown]
	v_cndmask_b32_e64 v34, v57, v34, s[0:1]
	v_cmp_gt_f32_e64 s[0:1], s34, v56
	s_nop 1
	v_cndmask_b32_e64 v55, v34, v56, s[0:1]
	s_branch .LBB10_2
.LBB10_7:
	s_add_u32 s0, s18, s28
	s_addc_u32 s1, s19, s29
	s_mul_i32 s2, s21, s2
	s_add_u32 s0, s0, s2
	s_addc_u32 s1, s1, 0
	s_add_u32 s0, s0, s33
	s_addc_u32 s1, s1, s3
	v_lshl_add_u64 v[0:1], v[42:43], 2, s[0:1]
	s_waitcnt vmcnt(3)
	global_store_dwordx4 v[0:1], v[14:17], off
	s_waitcnt vmcnt(3)
	global_store_dwordx4 v[0:1], v[10:13], off offset:16
	s_waitcnt vmcnt(3)
	global_store_dwordx4 v[0:1], v[6:9], off offset:32
	;; [unrolled: 2-line block ×3, first 2 shown]
	s_endpgm
	.section	.rodata,"a",@progbits
	.p2align	6, 0x0
	.amdhsa_kernel _Z12ssm_scan_f32ILm128ELm16ELm0EEvPKfS1_S1_S1_S1_S1_PKiPfiiiiiiiiiiilll
		.amdhsa_group_segment_fixed_size 128
		.amdhsa_private_segment_fixed_size 0
		.amdhsa_kernarg_size 136
		.amdhsa_user_sgpr_count 2
		.amdhsa_user_sgpr_dispatch_ptr 0
		.amdhsa_user_sgpr_queue_ptr 0
		.amdhsa_user_sgpr_kernarg_segment_ptr 1
		.amdhsa_user_sgpr_dispatch_id 0
		.amdhsa_user_sgpr_kernarg_preload_length 0
		.amdhsa_user_sgpr_kernarg_preload_offset 0
		.amdhsa_user_sgpr_private_segment_size 0
		.amdhsa_uses_dynamic_stack 0
		.amdhsa_enable_private_segment 0
		.amdhsa_system_sgpr_workgroup_id_x 1
		.amdhsa_system_sgpr_workgroup_id_y 1
		.amdhsa_system_sgpr_workgroup_id_z 0
		.amdhsa_system_sgpr_workgroup_info 0
		.amdhsa_system_vgpr_workitem_id 0
		.amdhsa_next_free_vgpr 71
		.amdhsa_next_free_sgpr 40
		.amdhsa_accum_offset 72
		.amdhsa_reserve_vcc 1
		.amdhsa_float_round_mode_32 0
		.amdhsa_float_round_mode_16_64 0
		.amdhsa_float_denorm_mode_32 3
		.amdhsa_float_denorm_mode_16_64 3
		.amdhsa_dx10_clamp 1
		.amdhsa_ieee_mode 1
		.amdhsa_fp16_overflow 0
		.amdhsa_tg_split 0
		.amdhsa_exception_fp_ieee_invalid_op 0
		.amdhsa_exception_fp_denorm_src 0
		.amdhsa_exception_fp_ieee_div_zero 0
		.amdhsa_exception_fp_ieee_overflow 0
		.amdhsa_exception_fp_ieee_underflow 0
		.amdhsa_exception_fp_ieee_inexact 0
		.amdhsa_exception_int_div_zero 0
	.end_amdhsa_kernel
	.section	.text._Z12ssm_scan_f32ILm128ELm16ELm0EEvPKfS1_S1_S1_S1_S1_PKiPfiiiiiiiiiiilll,"axG",@progbits,_Z12ssm_scan_f32ILm128ELm16ELm0EEvPKfS1_S1_S1_S1_S1_PKiPfiiiiiiiiiiilll,comdat
.Lfunc_end10:
	.size	_Z12ssm_scan_f32ILm128ELm16ELm0EEvPKfS1_S1_S1_S1_S1_PKiPfiiiiiiiiiiilll, .Lfunc_end10-_Z12ssm_scan_f32ILm128ELm16ELm0EEvPKfS1_S1_S1_S1_S1_PKiPfiiiiiiiiiiilll
                                        ; -- End function
	.set _Z12ssm_scan_f32ILm128ELm16ELm0EEvPKfS1_S1_S1_S1_S1_PKiPfiiiiiiiiiiilll.num_vgpr, 71
	.set _Z12ssm_scan_f32ILm128ELm16ELm0EEvPKfS1_S1_S1_S1_S1_PKiPfiiiiiiiiiiilll.num_agpr, 0
	.set _Z12ssm_scan_f32ILm128ELm16ELm0EEvPKfS1_S1_S1_S1_S1_PKiPfiiiiiiiiiiilll.numbered_sgpr, 40
	.set _Z12ssm_scan_f32ILm128ELm16ELm0EEvPKfS1_S1_S1_S1_S1_PKiPfiiiiiiiiiiilll.num_named_barrier, 0
	.set _Z12ssm_scan_f32ILm128ELm16ELm0EEvPKfS1_S1_S1_S1_S1_PKiPfiiiiiiiiiiilll.private_seg_size, 0
	.set _Z12ssm_scan_f32ILm128ELm16ELm0EEvPKfS1_S1_S1_S1_S1_PKiPfiiiiiiiiiiilll.uses_vcc, 1
	.set _Z12ssm_scan_f32ILm128ELm16ELm0EEvPKfS1_S1_S1_S1_S1_PKiPfiiiiiiiiiiilll.uses_flat_scratch, 0
	.set _Z12ssm_scan_f32ILm128ELm16ELm0EEvPKfS1_S1_S1_S1_S1_PKiPfiiiiiiiiiiilll.has_dyn_sized_stack, 0
	.set _Z12ssm_scan_f32ILm128ELm16ELm0EEvPKfS1_S1_S1_S1_S1_PKiPfiiiiiiiiiiilll.has_recursion, 0
	.set _Z12ssm_scan_f32ILm128ELm16ELm0EEvPKfS1_S1_S1_S1_S1_PKiPfiiiiiiiiiiilll.has_indirect_call, 0
	.section	.AMDGPU.csdata,"",@progbits
; Kernel info:
; codeLenInByte = 3420
; TotalNumSgprs: 46
; NumVgprs: 71
; NumAgprs: 0
; TotalNumVgprs: 71
; ScratchSize: 0
; MemoryBound: 0
; FloatMode: 240
; IeeeMode: 1
; LDSByteSize: 128 bytes/workgroup (compile time only)
; SGPRBlocks: 5
; VGPRBlocks: 8
; NumSGPRsForWavesPerEU: 46
; NumVGPRsForWavesPerEU: 71
; AccumOffset: 72
; Occupancy: 7
; WaveLimiterHint : 1
; COMPUTE_PGM_RSRC2:SCRATCH_EN: 0
; COMPUTE_PGM_RSRC2:USER_SGPR: 2
; COMPUTE_PGM_RSRC2:TRAP_HANDLER: 0
; COMPUTE_PGM_RSRC2:TGID_X_EN: 1
; COMPUTE_PGM_RSRC2:TGID_Y_EN: 1
; COMPUTE_PGM_RSRC2:TGID_Z_EN: 0
; COMPUTE_PGM_RSRC2:TIDIG_COMP_CNT: 0
; COMPUTE_PGM_RSRC3_GFX90A:ACCUM_OFFSET: 17
; COMPUTE_PGM_RSRC3_GFX90A:TG_SPLIT: 0
	.section	.AMDGPU.gpr_maximums,"",@progbits
	.set amdgpu.max_num_vgpr, 0
	.set amdgpu.max_num_agpr, 0
	.set amdgpu.max_num_sgpr, 0
	.section	.AMDGPU.csdata,"",@progbits
	.type	__hip_cuid_7d0db9b43234fb8d,@object ; @__hip_cuid_7d0db9b43234fb8d
	.section	.bss,"aw",@nobits
	.globl	__hip_cuid_7d0db9b43234fb8d
__hip_cuid_7d0db9b43234fb8d:
	.byte	0                               ; 0x0
	.size	__hip_cuid_7d0db9b43234fb8d, 1

	.ident	"AMD clang version 22.0.0git (https://github.com/RadeonOpenCompute/llvm-project roc-7.2.4 26084 f58b06dce1f9c15707c5f808fd002e18c2accf7e)"
	.section	".note.GNU-stack","",@progbits
	.addrsig
	.addrsig_sym __hip_cuid_7d0db9b43234fb8d
	.amdgpu_metadata
---
amdhsa.kernels:
  - .agpr_count:     0
    .args:
      - .address_space:  global
        .offset:         0
        .size:           8
        .value_kind:     global_buffer
      - .address_space:  global
        .offset:         8
        .size:           8
        .value_kind:     global_buffer
      - .address_space:  global
        .offset:         16
        .size:           8
        .value_kind:     global_buffer
      - .address_space:  global
        .offset:         24
        .size:           8
        .value_kind:     global_buffer
      - .address_space:  global
        .offset:         32
        .size:           8
        .value_kind:     global_buffer
      - .address_space:  global
        .offset:         40
        .size:           8
        .value_kind:     global_buffer
      - .address_space:  global
        .offset:         48
        .size:           8
        .value_kind:     global_buffer
      - .address_space:  global
        .offset:         56
        .size:           8
        .value_kind:     global_buffer
      - .offset:         64
        .size:           4
        .value_kind:     by_value
      - .offset:         68
        .size:           4
        .value_kind:     by_value
      - .offset:         72
        .size:           4
        .value_kind:     by_value
      - .offset:         76
        .size:           4
        .value_kind:     by_value
      - .offset:         80
        .size:           4
        .value_kind:     by_value
      - .offset:         84
        .size:           4
        .value_kind:     by_value
      - .offset:         88
        .size:           4
        .value_kind:     by_value
      - .offset:         92
        .size:           4
        .value_kind:     by_value
      - .offset:         96
        .size:           4
        .value_kind:     by_value
      - .offset:         100
        .size:           4
        .value_kind:     by_value
      - .offset:         104
        .size:           4
        .value_kind:     by_value
      - .offset:         112
        .size:           8
        .value_kind:     by_value
      - .offset:         120
        .size:           8
        .value_kind:     by_value
      - .offset:         128
        .size:           8
        .value_kind:     by_value
      - .offset:         136
        .size:           8
        .value_kind:     by_value
      - .offset:         144
        .size:           8
        .value_kind:     by_value
    .group_segment_fixed_size: 0
    .kernarg_segment_align: 8
    .kernarg_segment_size: 152
    .language:       OpenCL C
    .language_version:
      - 2
      - 0
    .max_flat_workgroup_size: 128
    .name:           _Z18ssm_scan_f32_groupILi4ELi128EEvPKfS1_S1_S1_S1_S1_PKiPfiiiiiiiiiiilllll
    .private_segment_fixed_size: 0
    .sgpr_count:     59
    .sgpr_spill_count: 0
    .symbol:         _Z18ssm_scan_f32_groupILi4ELi128EEvPKfS1_S1_S1_S1_S1_PKiPfiiiiiiiiiiilllll.kd
    .uniform_work_group_size: 1
    .uses_dynamic_stack: false
    .vgpr_count:     47
    .vgpr_spill_count: 0
    .wavefront_size: 64
  - .agpr_count:     0
    .args:
      - .address_space:  global
        .offset:         0
        .size:           8
        .value_kind:     global_buffer
      - .address_space:  global
        .offset:         8
        .size:           8
        .value_kind:     global_buffer
      - .address_space:  global
        .offset:         16
        .size:           8
        .value_kind:     global_buffer
      - .address_space:  global
        .offset:         24
        .size:           8
        .value_kind:     global_buffer
      - .address_space:  global
        .offset:         32
        .size:           8
        .value_kind:     global_buffer
      - .address_space:  global
        .offset:         40
        .size:           8
        .value_kind:     global_buffer
      - .address_space:  global
        .offset:         48
        .size:           8
        .value_kind:     global_buffer
      - .address_space:  global
        .offset:         56
        .size:           8
        .value_kind:     global_buffer
      - .offset:         64
        .size:           4
        .value_kind:     by_value
      - .offset:         68
        .size:           4
        .value_kind:     by_value
      - .offset:         72
        .size:           4
        .value_kind:     by_value
      - .offset:         76
        .size:           4
        .value_kind:     by_value
      - .offset:         80
        .size:           4
        .value_kind:     by_value
      - .offset:         84
        .size:           4
        .value_kind:     by_value
      - .offset:         88
        .size:           4
        .value_kind:     by_value
      - .offset:         92
        .size:           4
        .value_kind:     by_value
      - .offset:         96
        .size:           4
        .value_kind:     by_value
      - .offset:         100
        .size:           4
        .value_kind:     by_value
      - .offset:         104
        .size:           4
        .value_kind:     by_value
      - .offset:         112
        .size:           8
        .value_kind:     by_value
      - .offset:         120
        .size:           8
        .value_kind:     by_value
      - .offset:         128
        .size:           8
        .value_kind:     by_value
      - .offset:         136
        .size:           8
        .value_kind:     by_value
      - .offset:         144
        .size:           8
        .value_kind:     by_value
    .group_segment_fixed_size: 0
    .kernarg_segment_align: 8
    .kernarg_segment_size: 152
    .language:       OpenCL C
    .language_version:
      - 2
      - 0
    .max_flat_workgroup_size: 256
    .name:           _Z18ssm_scan_f32_groupILi8ELi256EEvPKfS1_S1_S1_S1_S1_PKiPfiiiiiiiiiiilllll
    .private_segment_fixed_size: 0
    .sgpr_count:     59
    .sgpr_spill_count: 0
    .symbol:         _Z18ssm_scan_f32_groupILi8ELi256EEvPKfS1_S1_S1_S1_S1_PKiPfiiiiiiiiiiilllll.kd
    .uniform_work_group_size: 1
    .uses_dynamic_stack: false
    .vgpr_count:     56
    .vgpr_spill_count: 0
    .wavefront_size: 64
  - .agpr_count:     0
    .args:
      - .address_space:  global
        .offset:         0
        .size:           8
        .value_kind:     global_buffer
      - .address_space:  global
        .offset:         8
        .size:           8
        .value_kind:     global_buffer
      - .address_space:  global
        .offset:         16
        .size:           8
        .value_kind:     global_buffer
      - .address_space:  global
        .offset:         24
        .size:           8
        .value_kind:     global_buffer
      - .address_space:  global
        .offset:         32
        .size:           8
        .value_kind:     global_buffer
      - .address_space:  global
        .offset:         40
        .size:           8
        .value_kind:     global_buffer
      - .address_space:  global
        .offset:         48
        .size:           8
        .value_kind:     global_buffer
      - .address_space:  global
        .offset:         56
        .size:           8
        .value_kind:     global_buffer
      - .offset:         64
        .size:           4
        .value_kind:     by_value
      - .offset:         68
        .size:           4
        .value_kind:     by_value
      - .offset:         72
        .size:           4
        .value_kind:     by_value
      - .offset:         76
        .size:           4
        .value_kind:     by_value
      - .offset:         80
        .size:           4
        .value_kind:     by_value
      - .offset:         84
        .size:           4
        .value_kind:     by_value
      - .offset:         88
        .size:           4
        .value_kind:     by_value
      - .offset:         92
        .size:           4
        .value_kind:     by_value
      - .offset:         96
        .size:           4
        .value_kind:     by_value
      - .offset:         100
        .size:           4
        .value_kind:     by_value
      - .offset:         104
        .size:           4
        .value_kind:     by_value
      - .offset:         112
        .size:           8
        .value_kind:     by_value
      - .offset:         120
        .size:           8
        .value_kind:     by_value
      - .offset:         128
        .size:           8
        .value_kind:     by_value
    .group_segment_fixed_size: 128
    .kernarg_segment_align: 8
    .kernarg_segment_size: 136
    .language:       OpenCL C
    .language_version:
      - 2
      - 0
    .max_flat_workgroup_size: 128
    .name:           _Z12ssm_scan_f32ILm128ELm16ELm1EEvPKfS1_S1_S1_S1_S1_PKiPfiiiiiiiiiiilll
    .private_segment_fixed_size: 0
    .sgpr_count:     35
    .sgpr_spill_count: 0
    .symbol:         _Z12ssm_scan_f32ILm128ELm16ELm1EEvPKfS1_S1_S1_S1_S1_PKiPfiiiiiiiiiiilll.kd
    .uniform_work_group_size: 1
    .uses_dynamic_stack: false
    .vgpr_count:     58
    .vgpr_spill_count: 0
    .wavefront_size: 64
  - .agpr_count:     0
    .args:
      - .address_space:  global
        .offset:         0
        .size:           8
        .value_kind:     global_buffer
      - .address_space:  global
        .offset:         8
        .size:           8
        .value_kind:     global_buffer
      - .address_space:  global
        .offset:         16
        .size:           8
        .value_kind:     global_buffer
      - .address_space:  global
        .offset:         24
        .size:           8
        .value_kind:     global_buffer
      - .address_space:  global
        .offset:         32
        .size:           8
        .value_kind:     global_buffer
      - .address_space:  global
        .offset:         40
        .size:           8
        .value_kind:     global_buffer
      - .address_space:  global
        .offset:         48
        .size:           8
        .value_kind:     global_buffer
      - .address_space:  global
        .offset:         56
        .size:           8
        .value_kind:     global_buffer
      - .offset:         64
        .size:           4
        .value_kind:     by_value
      - .offset:         68
        .size:           4
        .value_kind:     by_value
      - .offset:         72
        .size:           4
        .value_kind:     by_value
      - .offset:         76
        .size:           4
        .value_kind:     by_value
      - .offset:         80
        .size:           4
        .value_kind:     by_value
      - .offset:         84
        .size:           4
        .value_kind:     by_value
      - .offset:         88
        .size:           4
        .value_kind:     by_value
      - .offset:         92
        .size:           4
        .value_kind:     by_value
      - .offset:         96
        .size:           4
        .value_kind:     by_value
      - .offset:         100
        .size:           4
        .value_kind:     by_value
      - .offset:         104
        .size:           4
        .value_kind:     by_value
      - .offset:         112
        .size:           8
        .value_kind:     by_value
      - .offset:         120
        .size:           8
        .value_kind:     by_value
      - .offset:         128
        .size:           8
        .value_kind:     by_value
    .group_segment_fixed_size: 128
    .kernarg_segment_align: 8
    .kernarg_segment_size: 136
    .language:       OpenCL C
    .language_version:
      - 2
      - 0
    .max_flat_workgroup_size: 128
    .name:           _Z12ssm_scan_f32ILm128ELm16ELm2EEvPKfS1_S1_S1_S1_S1_PKiPfiiiiiiiiiiilll
    .private_segment_fixed_size: 0
    .sgpr_count:     47
    .sgpr_spill_count: 0
    .symbol:         _Z12ssm_scan_f32ILm128ELm16ELm2EEvPKfS1_S1_S1_S1_S1_PKiPfiiiiiiiiiiilll.kd
    .uniform_work_group_size: 1
    .uses_dynamic_stack: false
    .vgpr_count:     62
    .vgpr_spill_count: 0
    .wavefront_size: 64
  - .agpr_count:     0
    .args:
      - .address_space:  global
        .offset:         0
        .size:           8
        .value_kind:     global_buffer
      - .address_space:  global
        .offset:         8
        .size:           8
        .value_kind:     global_buffer
      - .address_space:  global
        .offset:         16
        .size:           8
        .value_kind:     global_buffer
      - .address_space:  global
        .offset:         24
        .size:           8
        .value_kind:     global_buffer
      - .address_space:  global
        .offset:         32
        .size:           8
        .value_kind:     global_buffer
      - .address_space:  global
        .offset:         40
        .size:           8
        .value_kind:     global_buffer
      - .address_space:  global
        .offset:         48
        .size:           8
        .value_kind:     global_buffer
      - .address_space:  global
        .offset:         56
        .size:           8
        .value_kind:     global_buffer
      - .offset:         64
        .size:           4
        .value_kind:     by_value
      - .offset:         68
        .size:           4
        .value_kind:     by_value
      - .offset:         72
        .size:           4
        .value_kind:     by_value
      - .offset:         76
        .size:           4
        .value_kind:     by_value
      - .offset:         80
        .size:           4
        .value_kind:     by_value
      - .offset:         84
        .size:           4
        .value_kind:     by_value
      - .offset:         88
        .size:           4
        .value_kind:     by_value
      - .offset:         92
        .size:           4
        .value_kind:     by_value
      - .offset:         96
        .size:           4
        .value_kind:     by_value
      - .offset:         100
        .size:           4
        .value_kind:     by_value
      - .offset:         104
        .size:           4
        .value_kind:     by_value
      - .offset:         112
        .size:           8
        .value_kind:     by_value
      - .offset:         120
        .size:           8
        .value_kind:     by_value
      - .offset:         128
        .size:           8
        .value_kind:     by_value
    .group_segment_fixed_size: 128
    .kernarg_segment_align: 8
    .kernarg_segment_size: 136
    .language:       OpenCL C
    .language_version:
      - 2
      - 0
    .max_flat_workgroup_size: 128
    .name:           _Z12ssm_scan_f32ILm128ELm16ELm3EEvPKfS1_S1_S1_S1_S1_PKiPfiiiiiiiiiiilll
    .private_segment_fixed_size: 0
    .sgpr_count:     43
    .sgpr_spill_count: 0
    .symbol:         _Z12ssm_scan_f32ILm128ELm16ELm3EEvPKfS1_S1_S1_S1_S1_PKiPfiiiiiiiiiiilll.kd
    .uniform_work_group_size: 1
    .uses_dynamic_stack: false
    .vgpr_count:     86
    .vgpr_spill_count: 0
    .wavefront_size: 64
  - .agpr_count:     0
    .args:
      - .address_space:  global
        .offset:         0
        .size:           8
        .value_kind:     global_buffer
      - .address_space:  global
        .offset:         8
        .size:           8
        .value_kind:     global_buffer
      - .address_space:  global
        .offset:         16
        .size:           8
        .value_kind:     global_buffer
      - .address_space:  global
        .offset:         24
        .size:           8
        .value_kind:     global_buffer
      - .address_space:  global
        .offset:         32
        .size:           8
        .value_kind:     global_buffer
      - .address_space:  global
        .offset:         40
        .size:           8
        .value_kind:     global_buffer
      - .address_space:  global
        .offset:         48
        .size:           8
        .value_kind:     global_buffer
      - .address_space:  global
        .offset:         56
        .size:           8
        .value_kind:     global_buffer
      - .offset:         64
        .size:           4
        .value_kind:     by_value
      - .offset:         68
        .size:           4
        .value_kind:     by_value
      - .offset:         72
        .size:           4
        .value_kind:     by_value
      - .offset:         76
        .size:           4
        .value_kind:     by_value
      - .offset:         80
        .size:           4
        .value_kind:     by_value
      - .offset:         84
        .size:           4
        .value_kind:     by_value
      - .offset:         88
        .size:           4
        .value_kind:     by_value
      - .offset:         92
        .size:           4
        .value_kind:     by_value
      - .offset:         96
        .size:           4
        .value_kind:     by_value
      - .offset:         100
        .size:           4
        .value_kind:     by_value
      - .offset:         104
        .size:           4
        .value_kind:     by_value
      - .offset:         112
        .size:           8
        .value_kind:     by_value
      - .offset:         120
        .size:           8
        .value_kind:     by_value
      - .offset:         128
        .size:           8
        .value_kind:     by_value
    .group_segment_fixed_size: 128
    .kernarg_segment_align: 8
    .kernarg_segment_size: 136
    .language:       OpenCL C
    .language_version:
      - 2
      - 0
    .max_flat_workgroup_size: 128
    .name:           _Z12ssm_scan_f32ILm128ELm16ELm4EEvPKfS1_S1_S1_S1_S1_PKiPfiiiiiiiiiiilll
    .private_segment_fixed_size: 0
    .sgpr_count:     43
    .sgpr_spill_count: 0
    .symbol:         _Z12ssm_scan_f32ILm128ELm16ELm4EEvPKfS1_S1_S1_S1_S1_PKiPfiiiiiiiiiiilll.kd
    .uniform_work_group_size: 1
    .uses_dynamic_stack: false
    .vgpr_count:     94
    .vgpr_spill_count: 0
    .wavefront_size: 64
  - .agpr_count:     0
    .args:
      - .address_space:  global
        .offset:         0
        .size:           8
        .value_kind:     global_buffer
      - .address_space:  global
        .offset:         8
        .size:           8
        .value_kind:     global_buffer
      - .address_space:  global
        .offset:         16
        .size:           8
        .value_kind:     global_buffer
      - .address_space:  global
        .offset:         24
        .size:           8
        .value_kind:     global_buffer
      - .address_space:  global
        .offset:         32
        .size:           8
        .value_kind:     global_buffer
      - .address_space:  global
        .offset:         40
        .size:           8
        .value_kind:     global_buffer
      - .address_space:  global
        .offset:         48
        .size:           8
        .value_kind:     global_buffer
      - .address_space:  global
        .offset:         56
        .size:           8
        .value_kind:     global_buffer
      - .offset:         64
        .size:           4
        .value_kind:     by_value
      - .offset:         68
        .size:           4
        .value_kind:     by_value
      - .offset:         72
        .size:           4
        .value_kind:     by_value
      - .offset:         76
        .size:           4
        .value_kind:     by_value
      - .offset:         80
        .size:           4
        .value_kind:     by_value
      - .offset:         84
        .size:           4
        .value_kind:     by_value
      - .offset:         88
        .size:           4
        .value_kind:     by_value
      - .offset:         92
        .size:           4
        .value_kind:     by_value
      - .offset:         96
        .size:           4
        .value_kind:     by_value
      - .offset:         100
        .size:           4
        .value_kind:     by_value
      - .offset:         104
        .size:           4
        .value_kind:     by_value
      - .offset:         112
        .size:           8
        .value_kind:     by_value
      - .offset:         120
        .size:           8
        .value_kind:     by_value
      - .offset:         128
        .size:           8
        .value_kind:     by_value
    .group_segment_fixed_size: 128
    .kernarg_segment_align: 8
    .kernarg_segment_size: 136
    .language:       OpenCL C
    .language_version:
      - 2
      - 0
    .max_flat_workgroup_size: 128
    .name:           _Z12ssm_scan_f32ILm128ELm16ELm5EEvPKfS1_S1_S1_S1_S1_PKiPfiiiiiiiiiiilll
    .private_segment_fixed_size: 0
    .sgpr_count:     43
    .sgpr_spill_count: 0
    .symbol:         _Z12ssm_scan_f32ILm128ELm16ELm5EEvPKfS1_S1_S1_S1_S1_PKiPfiiiiiiiiiiilll.kd
    .uniform_work_group_size: 1
    .uses_dynamic_stack: false
    .vgpr_count:     94
    .vgpr_spill_count: 0
    .wavefront_size: 64
  - .agpr_count:     0
    .args:
      - .address_space:  global
        .offset:         0
        .size:           8
        .value_kind:     global_buffer
      - .address_space:  global
        .offset:         8
        .size:           8
        .value_kind:     global_buffer
      - .address_space:  global
        .offset:         16
        .size:           8
        .value_kind:     global_buffer
      - .address_space:  global
        .offset:         24
        .size:           8
        .value_kind:     global_buffer
      - .address_space:  global
        .offset:         32
        .size:           8
        .value_kind:     global_buffer
      - .address_space:  global
        .offset:         40
        .size:           8
        .value_kind:     global_buffer
      - .address_space:  global
        .offset:         48
        .size:           8
        .value_kind:     global_buffer
      - .address_space:  global
        .offset:         56
        .size:           8
        .value_kind:     global_buffer
      - .offset:         64
        .size:           4
        .value_kind:     by_value
      - .offset:         68
        .size:           4
        .value_kind:     by_value
      - .offset:         72
        .size:           4
        .value_kind:     by_value
      - .offset:         76
        .size:           4
        .value_kind:     by_value
      - .offset:         80
        .size:           4
        .value_kind:     by_value
      - .offset:         84
        .size:           4
        .value_kind:     by_value
      - .offset:         88
        .size:           4
        .value_kind:     by_value
      - .offset:         92
        .size:           4
        .value_kind:     by_value
      - .offset:         96
        .size:           4
        .value_kind:     by_value
      - .offset:         100
        .size:           4
        .value_kind:     by_value
      - .offset:         104
        .size:           4
        .value_kind:     by_value
      - .offset:         112
        .size:           8
        .value_kind:     by_value
      - .offset:         120
        .size:           8
        .value_kind:     by_value
      - .offset:         128
        .size:           8
        .value_kind:     by_value
    .group_segment_fixed_size: 128
    .kernarg_segment_align: 8
    .kernarg_segment_size: 136
    .language:       OpenCL C
    .language_version:
      - 2
      - 0
    .max_flat_workgroup_size: 128
    .name:           _Z12ssm_scan_f32ILm128ELm16ELm6EEvPKfS1_S1_S1_S1_S1_PKiPfiiiiiiiiiiilll
    .private_segment_fixed_size: 0
    .sgpr_count:     43
    .sgpr_spill_count: 0
    .symbol:         _Z12ssm_scan_f32ILm128ELm16ELm6EEvPKfS1_S1_S1_S1_S1_PKiPfiiiiiiiiiiilll.kd
    .uniform_work_group_size: 1
    .uses_dynamic_stack: false
    .vgpr_count:     94
    .vgpr_spill_count: 0
    .wavefront_size: 64
  - .agpr_count:     0
    .args:
      - .address_space:  global
        .offset:         0
        .size:           8
        .value_kind:     global_buffer
      - .address_space:  global
        .offset:         8
        .size:           8
        .value_kind:     global_buffer
      - .address_space:  global
        .offset:         16
        .size:           8
        .value_kind:     global_buffer
      - .address_space:  global
        .offset:         24
        .size:           8
        .value_kind:     global_buffer
      - .address_space:  global
        .offset:         32
        .size:           8
        .value_kind:     global_buffer
      - .address_space:  global
        .offset:         40
        .size:           8
        .value_kind:     global_buffer
      - .address_space:  global
        .offset:         48
        .size:           8
        .value_kind:     global_buffer
      - .address_space:  global
        .offset:         56
        .size:           8
        .value_kind:     global_buffer
      - .offset:         64
        .size:           4
        .value_kind:     by_value
      - .offset:         68
        .size:           4
        .value_kind:     by_value
      - .offset:         72
        .size:           4
        .value_kind:     by_value
      - .offset:         76
        .size:           4
        .value_kind:     by_value
      - .offset:         80
        .size:           4
        .value_kind:     by_value
      - .offset:         84
        .size:           4
        .value_kind:     by_value
      - .offset:         88
        .size:           4
        .value_kind:     by_value
      - .offset:         92
        .size:           4
        .value_kind:     by_value
      - .offset:         96
        .size:           4
        .value_kind:     by_value
      - .offset:         100
        .size:           4
        .value_kind:     by_value
      - .offset:         104
        .size:           4
        .value_kind:     by_value
      - .offset:         112
        .size:           8
        .value_kind:     by_value
      - .offset:         120
        .size:           8
        .value_kind:     by_value
      - .offset:         128
        .size:           8
        .value_kind:     by_value
    .group_segment_fixed_size: 128
    .kernarg_segment_align: 8
    .kernarg_segment_size: 136
    .language:       OpenCL C
    .language_version:
      - 2
      - 0
    .max_flat_workgroup_size: 128
    .name:           _Z12ssm_scan_f32ILm128ELm16ELm7EEvPKfS1_S1_S1_S1_S1_PKiPfiiiiiiiiiiilll
    .private_segment_fixed_size: 0
    .sgpr_count:     43
    .sgpr_spill_count: 0
    .symbol:         _Z12ssm_scan_f32ILm128ELm16ELm7EEvPKfS1_S1_S1_S1_S1_PKiPfiiiiiiiiiiilll.kd
    .uniform_work_group_size: 1
    .uses_dynamic_stack: false
    .vgpr_count:     94
    .vgpr_spill_count: 0
    .wavefront_size: 64
  - .agpr_count:     0
    .args:
      - .address_space:  global
        .offset:         0
        .size:           8
        .value_kind:     global_buffer
      - .address_space:  global
        .offset:         8
        .size:           8
        .value_kind:     global_buffer
      - .address_space:  global
        .offset:         16
        .size:           8
        .value_kind:     global_buffer
      - .address_space:  global
        .offset:         24
        .size:           8
        .value_kind:     global_buffer
      - .address_space:  global
        .offset:         32
        .size:           8
        .value_kind:     global_buffer
      - .address_space:  global
        .offset:         40
        .size:           8
        .value_kind:     global_buffer
      - .address_space:  global
        .offset:         48
        .size:           8
        .value_kind:     global_buffer
      - .address_space:  global
        .offset:         56
        .size:           8
        .value_kind:     global_buffer
      - .offset:         64
        .size:           4
        .value_kind:     by_value
      - .offset:         68
        .size:           4
        .value_kind:     by_value
      - .offset:         72
        .size:           4
        .value_kind:     by_value
      - .offset:         76
        .size:           4
        .value_kind:     by_value
      - .offset:         80
        .size:           4
        .value_kind:     by_value
      - .offset:         84
        .size:           4
        .value_kind:     by_value
      - .offset:         88
        .size:           4
        .value_kind:     by_value
      - .offset:         92
        .size:           4
        .value_kind:     by_value
      - .offset:         96
        .size:           4
        .value_kind:     by_value
      - .offset:         100
        .size:           4
        .value_kind:     by_value
      - .offset:         104
        .size:           4
        .value_kind:     by_value
      - .offset:         112
        .size:           8
        .value_kind:     by_value
      - .offset:         120
        .size:           8
        .value_kind:     by_value
      - .offset:         128
        .size:           8
        .value_kind:     by_value
    .group_segment_fixed_size: 128
    .kernarg_segment_align: 8
    .kernarg_segment_size: 136
    .language:       OpenCL C
    .language_version:
      - 2
      - 0
    .max_flat_workgroup_size: 128
    .name:           _Z12ssm_scan_f32ILm128ELm16ELm8EEvPKfS1_S1_S1_S1_S1_PKiPfiiiiiiiiiiilll
    .private_segment_fixed_size: 0
    .sgpr_count:     43
    .sgpr_spill_count: 0
    .symbol:         _Z12ssm_scan_f32ILm128ELm16ELm8EEvPKfS1_S1_S1_S1_S1_PKiPfiiiiiiiiiiilll.kd
    .uniform_work_group_size: 1
    .uses_dynamic_stack: false
    .vgpr_count:     94
    .vgpr_spill_count: 0
    .wavefront_size: 64
  - .agpr_count:     0
    .args:
      - .address_space:  global
        .offset:         0
        .size:           8
        .value_kind:     global_buffer
      - .address_space:  global
        .offset:         8
        .size:           8
        .value_kind:     global_buffer
      - .address_space:  global
        .offset:         16
        .size:           8
        .value_kind:     global_buffer
      - .address_space:  global
        .offset:         24
        .size:           8
        .value_kind:     global_buffer
      - .address_space:  global
        .offset:         32
        .size:           8
        .value_kind:     global_buffer
      - .address_space:  global
        .offset:         40
        .size:           8
        .value_kind:     global_buffer
      - .address_space:  global
        .offset:         48
        .size:           8
        .value_kind:     global_buffer
      - .address_space:  global
        .offset:         56
        .size:           8
        .value_kind:     global_buffer
      - .offset:         64
        .size:           4
        .value_kind:     by_value
      - .offset:         68
        .size:           4
        .value_kind:     by_value
      - .offset:         72
        .size:           4
        .value_kind:     by_value
      - .offset:         76
        .size:           4
        .value_kind:     by_value
      - .offset:         80
        .size:           4
        .value_kind:     by_value
      - .offset:         84
        .size:           4
        .value_kind:     by_value
      - .offset:         88
        .size:           4
        .value_kind:     by_value
      - .offset:         92
        .size:           4
        .value_kind:     by_value
      - .offset:         96
        .size:           4
        .value_kind:     by_value
      - .offset:         100
        .size:           4
        .value_kind:     by_value
      - .offset:         104
        .size:           4
        .value_kind:     by_value
      - .offset:         112
        .size:           8
        .value_kind:     by_value
      - .offset:         120
        .size:           8
        .value_kind:     by_value
      - .offset:         128
        .size:           8
        .value_kind:     by_value
    .group_segment_fixed_size: 128
    .kernarg_segment_align: 8
    .kernarg_segment_size: 136
    .language:       OpenCL C
    .language_version:
      - 2
      - 0
    .max_flat_workgroup_size: 128
    .name:           _Z12ssm_scan_f32ILm128ELm16ELm0EEvPKfS1_S1_S1_S1_S1_PKiPfiiiiiiiiiiilll
    .private_segment_fixed_size: 0
    .sgpr_count:     46
    .sgpr_spill_count: 0
    .symbol:         _Z12ssm_scan_f32ILm128ELm16ELm0EEvPKfS1_S1_S1_S1_S1_PKiPfiiiiiiiiiiilll.kd
    .uniform_work_group_size: 1
    .uses_dynamic_stack: false
    .vgpr_count:     71
    .vgpr_spill_count: 0
    .wavefront_size: 64
amdhsa.target:   amdgcn-amd-amdhsa--gfx950
amdhsa.version:
  - 1
  - 2
...

	.end_amdgpu_metadata
